;; amdgpu-corpus repo=ROCm/rocFFT kind=compiled arch=gfx1030 opt=O3
	.text
	.amdgcn_target "amdgcn-amd-amdhsa--gfx1030"
	.amdhsa_code_object_version 6
	.protected	fft_rtc_fwd_len2016_factors_2_2_2_2_2_3_3_7_wgs_224_tpt_112_halfLds_sp_ip_CI_unitstride_sbrr_C2R_dirReg ; -- Begin function fft_rtc_fwd_len2016_factors_2_2_2_2_2_3_3_7_wgs_224_tpt_112_halfLds_sp_ip_CI_unitstride_sbrr_C2R_dirReg
	.globl	fft_rtc_fwd_len2016_factors_2_2_2_2_2_3_3_7_wgs_224_tpt_112_halfLds_sp_ip_CI_unitstride_sbrr_C2R_dirReg
	.p2align	8
	.type	fft_rtc_fwd_len2016_factors_2_2_2_2_2_3_3_7_wgs_224_tpt_112_halfLds_sp_ip_CI_unitstride_sbrr_C2R_dirReg,@function
fft_rtc_fwd_len2016_factors_2_2_2_2_2_3_3_7_wgs_224_tpt_112_halfLds_sp_ip_CI_unitstride_sbrr_C2R_dirReg: ; @fft_rtc_fwd_len2016_factors_2_2_2_2_2_3_3_7_wgs_224_tpt_112_halfLds_sp_ip_CI_unitstride_sbrr_C2R_dirReg
; %bb.0:
	s_clause 0x2
	s_load_dwordx4 s[8:11], s[4:5], 0x0
	s_load_dwordx2 s[2:3], s[4:5], 0x50
	s_load_dwordx2 s[12:13], s[4:5], 0x18
	v_mul_u32_u24_e32 v1, 0x24a, v0
	v_mov_b32_e32 v3, 0
	v_lshrrev_b32_e32 v9, 16, v1
	v_mov_b32_e32 v1, 0
	v_mov_b32_e32 v6, v3
	v_mov_b32_e32 v2, 0
	v_lshl_add_u32 v5, s6, 1, v9
	s_waitcnt lgkmcnt(0)
	v_cmp_lt_u64_e64 s0, s[10:11], 2
	s_and_b32 vcc_lo, exec_lo, s0
	s_cbranch_vccnz .LBB0_8
; %bb.1:
	s_load_dwordx2 s[0:1], s[4:5], 0x10
	v_mov_b32_e32 v1, 0
	s_add_u32 s6, s12, 8
	v_mov_b32_e32 v2, 0
	s_addc_u32 s7, s13, 0
	s_mov_b64 s[16:17], 1
	s_waitcnt lgkmcnt(0)
	s_add_u32 s14, s0, 8
	s_addc_u32 s15, s1, 0
.LBB0_2:                                ; =>This Inner Loop Header: Depth=1
	s_load_dwordx2 s[18:19], s[14:15], 0x0
                                        ; implicit-def: $vgpr7_vgpr8
	s_mov_b32 s0, exec_lo
	s_waitcnt lgkmcnt(0)
	v_or_b32_e32 v4, s19, v6
	v_cmpx_ne_u64_e32 0, v[3:4]
	s_xor_b32 s1, exec_lo, s0
	s_cbranch_execz .LBB0_4
; %bb.3:                                ;   in Loop: Header=BB0_2 Depth=1
	v_cvt_f32_u32_e32 v4, s18
	v_cvt_f32_u32_e32 v7, s19
	s_sub_u32 s0, 0, s18
	s_subb_u32 s20, 0, s19
	v_fmac_f32_e32 v4, 0x4f800000, v7
	v_rcp_f32_e32 v4, v4
	v_mul_f32_e32 v4, 0x5f7ffffc, v4
	v_mul_f32_e32 v7, 0x2f800000, v4
	v_trunc_f32_e32 v7, v7
	v_fmac_f32_e32 v4, 0xcf800000, v7
	v_cvt_u32_f32_e32 v7, v7
	v_cvt_u32_f32_e32 v4, v4
	v_mul_lo_u32 v8, s0, v7
	v_mul_hi_u32 v10, s0, v4
	v_mul_lo_u32 v11, s20, v4
	v_add_nc_u32_e32 v8, v10, v8
	v_mul_lo_u32 v10, s0, v4
	v_add_nc_u32_e32 v8, v8, v11
	v_mul_hi_u32 v11, v4, v10
	v_mul_lo_u32 v12, v4, v8
	v_mul_hi_u32 v13, v4, v8
	v_mul_hi_u32 v14, v7, v10
	v_mul_lo_u32 v10, v7, v10
	v_mul_hi_u32 v15, v7, v8
	v_mul_lo_u32 v8, v7, v8
	v_add_co_u32 v11, vcc_lo, v11, v12
	v_add_co_ci_u32_e32 v12, vcc_lo, 0, v13, vcc_lo
	v_add_co_u32 v10, vcc_lo, v11, v10
	v_add_co_ci_u32_e32 v10, vcc_lo, v12, v14, vcc_lo
	v_add_co_ci_u32_e32 v11, vcc_lo, 0, v15, vcc_lo
	v_add_co_u32 v8, vcc_lo, v10, v8
	v_add_co_ci_u32_e32 v10, vcc_lo, 0, v11, vcc_lo
	v_add_co_u32 v4, vcc_lo, v4, v8
	v_add_co_ci_u32_e32 v7, vcc_lo, v7, v10, vcc_lo
	v_mul_hi_u32 v8, s0, v4
	v_mul_lo_u32 v11, s20, v4
	v_mul_lo_u32 v10, s0, v7
	v_add_nc_u32_e32 v8, v8, v10
	v_mul_lo_u32 v10, s0, v4
	v_add_nc_u32_e32 v8, v8, v11
	v_mul_hi_u32 v11, v4, v10
	v_mul_lo_u32 v12, v4, v8
	v_mul_hi_u32 v13, v4, v8
	v_mul_hi_u32 v14, v7, v10
	v_mul_lo_u32 v10, v7, v10
	v_mul_hi_u32 v15, v7, v8
	v_mul_lo_u32 v8, v7, v8
	v_add_co_u32 v11, vcc_lo, v11, v12
	v_add_co_ci_u32_e32 v12, vcc_lo, 0, v13, vcc_lo
	v_add_co_u32 v10, vcc_lo, v11, v10
	v_add_co_ci_u32_e32 v10, vcc_lo, v12, v14, vcc_lo
	v_add_co_ci_u32_e32 v11, vcc_lo, 0, v15, vcc_lo
	v_add_co_u32 v8, vcc_lo, v10, v8
	v_add_co_ci_u32_e32 v10, vcc_lo, 0, v11, vcc_lo
	v_add_co_u32 v4, vcc_lo, v4, v8
	v_add_co_ci_u32_e32 v12, vcc_lo, v7, v10, vcc_lo
	v_mul_hi_u32 v14, v5, v4
	v_mad_u64_u32 v[10:11], null, v6, v4, 0
	v_mad_u64_u32 v[7:8], null, v5, v12, 0
	;; [unrolled: 1-line block ×3, first 2 shown]
	v_add_co_u32 v4, vcc_lo, v14, v7
	v_add_co_ci_u32_e32 v7, vcc_lo, 0, v8, vcc_lo
	v_add_co_u32 v4, vcc_lo, v4, v10
	v_add_co_ci_u32_e32 v4, vcc_lo, v7, v11, vcc_lo
	v_add_co_ci_u32_e32 v7, vcc_lo, 0, v13, vcc_lo
	v_add_co_u32 v4, vcc_lo, v4, v12
	v_add_co_ci_u32_e32 v10, vcc_lo, 0, v7, vcc_lo
	v_mul_lo_u32 v11, s19, v4
	v_mad_u64_u32 v[7:8], null, s18, v4, 0
	v_mul_lo_u32 v12, s18, v10
	v_sub_co_u32 v7, vcc_lo, v5, v7
	v_add3_u32 v8, v8, v12, v11
	v_sub_nc_u32_e32 v11, v6, v8
	v_subrev_co_ci_u32_e64 v11, s0, s19, v11, vcc_lo
	v_add_co_u32 v12, s0, v4, 2
	v_add_co_ci_u32_e64 v13, s0, 0, v10, s0
	v_sub_co_u32 v14, s0, v7, s18
	v_sub_co_ci_u32_e32 v8, vcc_lo, v6, v8, vcc_lo
	v_subrev_co_ci_u32_e64 v11, s0, 0, v11, s0
	v_cmp_le_u32_e32 vcc_lo, s18, v14
	v_cmp_eq_u32_e64 s0, s19, v8
	v_cndmask_b32_e64 v14, 0, -1, vcc_lo
	v_cmp_le_u32_e32 vcc_lo, s19, v11
	v_cndmask_b32_e64 v15, 0, -1, vcc_lo
	v_cmp_le_u32_e32 vcc_lo, s18, v7
	;; [unrolled: 2-line block ×3, first 2 shown]
	v_cndmask_b32_e64 v16, 0, -1, vcc_lo
	v_cmp_eq_u32_e32 vcc_lo, s19, v11
	v_cndmask_b32_e64 v7, v16, v7, s0
	v_cndmask_b32_e32 v11, v15, v14, vcc_lo
	v_add_co_u32 v14, vcc_lo, v4, 1
	v_add_co_ci_u32_e32 v15, vcc_lo, 0, v10, vcc_lo
	v_cmp_ne_u32_e32 vcc_lo, 0, v11
	v_cndmask_b32_e32 v8, v15, v13, vcc_lo
	v_cndmask_b32_e32 v11, v14, v12, vcc_lo
	v_cmp_ne_u32_e32 vcc_lo, 0, v7
	v_cndmask_b32_e32 v8, v10, v8, vcc_lo
	v_cndmask_b32_e32 v7, v4, v11, vcc_lo
.LBB0_4:                                ;   in Loop: Header=BB0_2 Depth=1
	s_andn2_saveexec_b32 s0, s1
	s_cbranch_execz .LBB0_6
; %bb.5:                                ;   in Loop: Header=BB0_2 Depth=1
	v_cvt_f32_u32_e32 v4, s18
	s_sub_i32 s1, 0, s18
	v_rcp_iflag_f32_e32 v4, v4
	v_mul_f32_e32 v4, 0x4f7ffffe, v4
	v_cvt_u32_f32_e32 v4, v4
	v_mul_lo_u32 v7, s1, v4
	v_mul_hi_u32 v7, v4, v7
	v_add_nc_u32_e32 v4, v4, v7
	v_mul_hi_u32 v4, v5, v4
	v_mul_lo_u32 v7, v4, s18
	v_add_nc_u32_e32 v8, 1, v4
	v_sub_nc_u32_e32 v7, v5, v7
	v_subrev_nc_u32_e32 v10, s18, v7
	v_cmp_le_u32_e32 vcc_lo, s18, v7
	v_cndmask_b32_e32 v7, v7, v10, vcc_lo
	v_cndmask_b32_e32 v4, v4, v8, vcc_lo
	v_cmp_le_u32_e32 vcc_lo, s18, v7
	v_add_nc_u32_e32 v8, 1, v4
	v_cndmask_b32_e32 v7, v4, v8, vcc_lo
	v_mov_b32_e32 v8, v3
.LBB0_6:                                ;   in Loop: Header=BB0_2 Depth=1
	s_or_b32 exec_lo, exec_lo, s0
	s_load_dwordx2 s[0:1], s[6:7], 0x0
	v_mul_lo_u32 v4, v8, s18
	v_mul_lo_u32 v12, v7, s19
	v_mad_u64_u32 v[10:11], null, v7, s18, 0
	s_add_u32 s16, s16, 1
	s_addc_u32 s17, s17, 0
	s_add_u32 s6, s6, 8
	s_addc_u32 s7, s7, 0
	;; [unrolled: 2-line block ×3, first 2 shown]
	v_add3_u32 v4, v11, v12, v4
	v_sub_co_u32 v5, vcc_lo, v5, v10
	v_sub_co_ci_u32_e32 v4, vcc_lo, v6, v4, vcc_lo
	s_waitcnt lgkmcnt(0)
	v_mul_lo_u32 v6, s1, v5
	v_mul_lo_u32 v4, s0, v4
	v_mad_u64_u32 v[1:2], null, s0, v5, v[1:2]
	v_cmp_ge_u64_e64 s0, s[16:17], s[10:11]
	s_and_b32 vcc_lo, exec_lo, s0
	v_add3_u32 v2, v6, v2, v4
	s_cbranch_vccnz .LBB0_9
; %bb.7:                                ;   in Loop: Header=BB0_2 Depth=1
	v_mov_b32_e32 v5, v7
	v_mov_b32_e32 v6, v8
	s_branch .LBB0_2
.LBB0_8:
	v_mov_b32_e32 v8, v6
	v_mov_b32_e32 v7, v5
.LBB0_9:
	s_lshl_b64 s[0:1], s[10:11], 3
	v_and_b32_e32 v6, 1, v9
	s_add_u32 s0, s12, s0
	s_addc_u32 s1, s13, s1
	v_mul_hi_u32 v3, 0x2492493, v0
	s_load_dwordx2 s[0:1], s[0:1], 0x0
	s_load_dwordx2 s[4:5], s[4:5], 0x20
	v_cmp_eq_u32_e32 vcc_lo, 1, v6
	v_cndmask_b32_e64 v49, 0, 0x7e1, vcc_lo
	v_mul_u32_u24_e32 v3, 0x70, v3
	v_lshlrev_b32_e32 v14, 3, v49
	v_sub_nc_u32_e32 v30, v0, v3
	s_waitcnt lgkmcnt(0)
	v_mul_lo_u32 v4, s0, v8
	v_mul_lo_u32 v5, s1, v7
	v_mad_u64_u32 v[1:2], null, s0, v7, v[1:2]
	v_cmp_gt_u64_e32 vcc_lo, s[4:5], v[7:8]
	v_add3_u32 v2, v5, v2, v4
	v_lshlrev_b64 v[32:33], 3, v[1:2]
	s_and_saveexec_b32 s1, vcc_lo
	s_cbranch_execz .LBB0_13
; %bb.10:
	v_mov_b32_e32 v31, 0
	v_add_co_u32 v0, s0, s2, v32
	v_add_co_ci_u32_e64 v1, s0, s3, v33, s0
	v_lshlrev_b64 v[2:3], 3, v[30:31]
	v_or_b32_e32 v4, 0x380, v30
	v_mov_b32_e32 v5, v31
	v_or_b32_e32 v34, 0x700, v30
	v_mov_b32_e32 v35, v31
	s_mov_b32 s4, exec_lo
	v_add_co_u32 v2, s0, v0, v2
	v_add_co_ci_u32_e64 v3, s0, v1, v3, s0
	v_lshlrev_b64 v[4:5], 3, v[4:5]
	v_add_co_u32 v6, s0, 0x800, v2
	v_add_co_ci_u32_e64 v7, s0, 0, v3, s0
	v_add_co_u32 v17, s0, 0x1000, v2
	v_add_co_ci_u32_e64 v18, s0, 0, v3, s0
	v_add_co_u32 v19, s0, 0x1800, v2
	v_add_co_ci_u32_e64 v20, s0, 0, v3, s0
	v_add_co_u32 v4, s0, v0, v4
	v_add_co_ci_u32_e64 v5, s0, v1, v5, s0
	v_add_co_u32 v21, s0, 0x2000, v2
	v_add_co_ci_u32_e64 v22, s0, 0, v3, s0
	v_add_co_u32 v36, s0, 0x2800, v2
	v_lshlrev_b64 v[34:35], 3, v[34:35]
	v_add_co_ci_u32_e64 v37, s0, 0, v3, s0
	v_add_co_u32 v38, s0, 0x3000, v2
	v_add_co_ci_u32_e64 v39, s0, 0, v3, s0
	v_add_co_u32 v34, s0, v0, v34
	v_add_co_ci_u32_e64 v35, s0, v1, v35, s0
	s_clause 0x3
	global_load_dwordx2 v[8:9], v[2:3], off
	global_load_dwordx2 v[10:11], v[2:3], off offset:896
	global_load_dwordx2 v[12:13], v[2:3], off offset:1792
	;; [unrolled: 1-line block ×3, first 2 shown]
	v_add_co_u32 v2, s0, 0x3800, v2
	s_clause 0x7
	global_load_dwordx2 v[6:7], v[6:7], off offset:1536
	global_load_dwordx2 v[23:24], v[17:18], off offset:384
	;; [unrolled: 1-line block ×6, first 2 shown]
	global_load_dwordx2 v[4:5], v[4:5], off
	global_load_dwordx2 v[19:20], v[19:20], off offset:1920
	v_add_co_ci_u32_e64 v3, s0, 0, v3, s0
	s_clause 0x5
	global_load_dwordx2 v[40:41], v[36:37], off offset:512
	global_load_dwordx2 v[36:37], v[36:37], off offset:1408
	;; [unrolled: 1-line block ×4, first 2 shown]
	global_load_dwordx2 v[34:35], v[34:35], off
	global_load_dwordx2 v[44:45], v[2:3], off offset:896
	v_lshlrev_b32_e32 v2, 3, v30
	v_add3_u32 v2, 0, v14, v2
	v_add_nc_u32_e32 v3, 0x400, v2
	v_add_nc_u32_e32 v29, 0xc00, v2
	;; [unrolled: 1-line block ×8, first 2 shown]
	s_waitcnt vmcnt(16)
	ds_write2_b64 v2, v[8:9], v[10:11] offset1:112
	s_waitcnt vmcnt(14)
	ds_write2_b64 v3, v[12:13], v[15:16] offset0:96 offset1:208
	s_waitcnt vmcnt(12)
	ds_write2_b64 v29, v[6:7], v[23:24] offset0:64 offset1:176
	;; [unrolled: 2-line block ×4, first 2 shown]
	ds_write2_b64 v47, v[27:28], v[21:22] offset0:96 offset1:208
	s_waitcnt vmcnt(4)
	ds_write2_b64 v48, v[40:41], v[36:37] offset0:64 offset1:176
	s_waitcnt vmcnt(2)
	;; [unrolled: 2-line block ×3, first 2 shown]
	ds_write2_b64 v51, v[34:35], v[44:45] offset1:112
	v_cmpx_eq_u32_e32 0x6f, v30
	s_cbranch_execz .LBB0_12
; %bb.11:
	v_add_co_u32 v0, s0, 0x3800, v0
	v_add_co_ci_u32_e64 v1, s0, 0, v1, s0
	v_mov_b32_e32 v30, 0x6f
	global_load_dwordx2 v[0:1], v[0:1], off offset:1792
	s_waitcnt vmcnt(0)
	ds_write_b64 v2, v[0:1] offset:15240
.LBB0_12:
	s_or_b32 exec_lo, exec_lo, s4
.LBB0_13:
	s_or_b32 exec_lo, exec_lo, s1
	v_lshl_add_u32 v48, v49, 3, 0
	v_lshlrev_b32_e32 v0, 3, v30
	s_waitcnt lgkmcnt(0)
	s_barrier
	buffer_gl0_inv
	s_add_u32 s1, s8, 0x3ef0
	v_add_nc_u32_e32 v38, v48, v0
	v_sub_nc_u32_e32 v4, v48, v0
	s_addc_u32 s4, s9, 0
	s_mov_b32 s5, exec_lo
	ds_read_b32 v5, v38
	ds_read_b32 v6, v4 offset:16128
                                        ; implicit-def: $vgpr2_vgpr3
	s_waitcnt lgkmcnt(0)
	v_add_f32_e32 v0, v6, v5
	v_sub_f32_e32 v1, v5, v6
	v_cmpx_ne_u32_e32 0, v30
	s_xor_b32 s5, exec_lo, s5
	s_cbranch_execz .LBB0_15
; %bb.14:
	v_mov_b32_e32 v31, 0
	v_add_f32_e32 v7, v6, v5
	v_sub_f32_e32 v8, v5, v6
	v_lshlrev_b64 v[0:1], 3, v[30:31]
	v_add_co_u32 v0, s0, s1, v0
	v_add_co_ci_u32_e64 v1, s0, s4, v1, s0
	global_load_dwordx2 v[2:3], v[0:1], off
	ds_read_b32 v0, v4 offset:16132
	ds_read_b32 v1, v38 offset:4
	s_waitcnt lgkmcnt(0)
	v_add_f32_e32 v9, v0, v1
	v_sub_f32_e32 v0, v1, v0
	s_waitcnt vmcnt(0)
	v_fma_f32 v5, -v8, v3, v7
	v_fma_f32 v6, v9, v3, -v0
	v_fma_f32 v10, v8, v3, v7
	v_fma_f32 v1, v9, v3, v0
	v_fmac_f32_e32 v5, v2, v9
	v_fmac_f32_e32 v6, v8, v2
	v_fma_f32 v0, -v2, v9, v10
	v_fmac_f32_e32 v1, v8, v2
	v_mov_b32_e32 v2, v30
	v_mov_b32_e32 v3, v31
	ds_write_b64 v4, v[5:6] offset:16128
.LBB0_15:
	s_andn2_saveexec_b32 s0, s5
	s_cbranch_execz .LBB0_17
; %bb.16:
	ds_read_b64 v[2:3], v48 offset:8064
	s_waitcnt lgkmcnt(0)
	v_add_f32_e32 v5, v2, v2
	v_mul_f32_e32 v6, -2.0, v3
	v_mov_b32_e32 v2, 0
	v_mov_b32_e32 v3, 0
	ds_write_b64 v48, v[5:6] offset:8064
.LBB0_17:
	s_or_b32 exec_lo, exec_lo, s0
	v_lshlrev_b64 v[2:3], 3, v[2:3]
	v_or_b32_e32 v34, 0x380, v30
	v_mov_b32_e32 v35, 0
	v_lshl_add_u32 v51, v30, 3, 0
	v_add_nc_u32_e32 v50, 0xe0, v30
	v_add_nc_u32_e32 v47, 0x2a0, v30
	v_add_co_u32 v2, s0, s1, v2
	v_add_co_ci_u32_e64 v3, s0, s4, v3, s0
	v_lshlrev_b64 v[19:20], 3, v[34:35]
	v_add_co_u32 v9, s0, 0x800, v2
	s_clause 0x1
	global_load_dwordx2 v[5:6], v[2:3], off offset:896
	global_load_dwordx2 v[7:8], v[2:3], off offset:1792
	v_add_co_ci_u32_e64 v10, s0, 0, v3, s0
	v_add_co_u32 v15, s0, 0x1000, v2
	s_clause 0x1
	global_load_dwordx2 v[11:12], v[9:10], off offset:640
	global_load_dwordx2 v[9:10], v[9:10], off offset:1536
	v_add_co_ci_u32_e64 v16, s0, 0, v3, s0
	s_clause 0x1
	global_load_dwordx2 v[17:18], v[15:16], off offset:384
	global_load_dwordx2 v[15:16], v[15:16], off offset:1280
	v_add_co_u32 v2, s0, 0x1800, v2
	v_add_co_ci_u32_e64 v3, s0, 0, v3, s0
	v_add_co_u32 v19, s0, s1, v19
	v_add_co_ci_u32_e64 v20, s0, s4, v20, s0
	global_load_dwordx2 v[2:3], v[2:3], off offset:128
	ds_write_b64 v38, v[0:1]
	ds_read_b64 v[0:1], v38 offset:896
	ds_read_b64 v[21:22], v4 offset:15232
	global_load_dwordx2 v[19:20], v[19:20], off
	v_add_nc_u32_e32 v31, v51, v14
	v_add_nc_u32_e32 v60, 0x310, v30
	v_lshlrev_b32_e32 v52, 4, v47
	v_and_b32_e32 v61, 1, v30
	v_lshlrev_b32_e32 v63, 4, v34
	v_cmp_gt_u32_e64 s0, 0x60, v30
	v_lshlrev_b32_e32 v56, 4, v60
	v_add3_u32 v70, 0, v52, v14
	v_lshlrev_b32_e32 v64, 3, v61
	v_add3_u32 v63, 0, v63, v14
	v_add3_u32 v71, 0, v56, v14
	s_waitcnt lgkmcnt(0)
	v_add_f32_e32 v13, v0, v21
	v_add_f32_e32 v23, v22, v1
	v_sub_f32_e32 v24, v0, v21
	v_sub_f32_e32 v0, v1, v22
	s_waitcnt vmcnt(7)
	v_fma_f32 v25, v24, v6, v13
	v_fma_f32 v1, v23, v6, v0
	v_fma_f32 v21, -v24, v6, v13
	v_fma_f32 v22, v23, v6, -v0
	v_fma_f32 v0, -v5, v23, v25
	v_fmac_f32_e32 v1, v24, v5
	v_fmac_f32_e32 v21, v5, v23
	v_fmac_f32_e32 v22, v24, v5
	v_add_nc_u32_e32 v24, 0x70, v30
	ds_write_b64 v38, v[0:1] offset:896
	ds_write_b64 v4, v[21:22] offset:15232
	ds_read_b64 v[0:1], v38 offset:1792
	ds_read_b64 v[5:6], v4 offset:14336
	v_add_nc_u32_e32 v25, 0x150, v30
	v_lshlrev_b32_e32 v26, 4, v25
	v_add3_u32 v67, 0, v26, v14
	s_waitcnt lgkmcnt(0)
	v_add_f32_e32 v13, v0, v5
	v_add_f32_e32 v21, v6, v1
	v_sub_f32_e32 v22, v0, v5
	v_sub_f32_e32 v0, v1, v6
	s_waitcnt vmcnt(6)
	v_fma_f32 v23, v22, v8, v13
	v_fma_f32 v1, v21, v8, v0
	v_fma_f32 v5, -v22, v8, v13
	v_fma_f32 v6, v21, v8, -v0
	v_fma_f32 v0, -v7, v21, v23
	v_fmac_f32_e32 v1, v22, v7
	v_fmac_f32_e32 v5, v7, v21
	;; [unrolled: 1-line block ×3, first 2 shown]
	ds_write_b64 v38, v[0:1] offset:1792
	ds_write_b64 v4, v[5:6] offset:14336
	ds_read_b64 v[0:1], v38 offset:2688
	ds_read_b64 v[5:6], v4 offset:13440
	v_add_nc_u32_e32 v23, 0x1c0, v30
	v_add_nc_u32_e32 v22, 0x230, v30
	v_lshlrev_b32_e32 v36, 4, v23
	v_lshlrev_b32_e32 v37, 4, v22
	v_add3_u32 v68, 0, v36, v14
	v_add3_u32 v69, 0, v37, v14
	s_waitcnt lgkmcnt(0)
	v_add_f32_e32 v7, v0, v5
	v_add_f32_e32 v8, v6, v1
	v_sub_f32_e32 v13, v0, v5
	v_sub_f32_e32 v0, v1, v6
	s_waitcnt vmcnt(5)
	v_fma_f32 v21, v13, v12, v7
	v_fma_f32 v1, v8, v12, v0
	v_fma_f32 v5, -v13, v12, v7
	v_fma_f32 v6, v8, v12, -v0
	v_fma_f32 v0, -v11, v8, v21
	v_fmac_f32_e32 v1, v13, v11
	v_fmac_f32_e32 v5, v11, v8
	v_fmac_f32_e32 v6, v13, v11
	ds_write_b64 v38, v[0:1] offset:2688
	ds_write_b64 v4, v[5:6] offset:13440
	ds_read_b64 v[0:1], v38 offset:3584
	ds_read_b64 v[5:6], v4 offset:12544
	v_add_nc_u32_e32 v21, 0x1800, v31
	s_waitcnt lgkmcnt(0)
	v_add_f32_e32 v7, v0, v5
	v_add_f32_e32 v8, v6, v1
	v_sub_f32_e32 v11, v0, v5
	v_sub_f32_e32 v0, v1, v6
	s_waitcnt vmcnt(4)
	v_fma_f32 v12, v11, v10, v7
	v_fma_f32 v1, v8, v10, v0
	v_fma_f32 v5, -v11, v10, v7
	v_fma_f32 v6, v8, v10, -v0
	v_fma_f32 v0, -v9, v8, v12
	v_fmac_f32_e32 v1, v11, v9
	v_fmac_f32_e32 v5, v9, v8
	;; [unrolled: 1-line block ×3, first 2 shown]
	ds_write_b64 v38, v[0:1] offset:3584
	ds_write_b64 v4, v[5:6] offset:12544
	ds_read_b64 v[0:1], v38 offset:4480
	ds_read_b64 v[5:6], v4 offset:11648
	s_waitcnt lgkmcnt(0)
	v_add_f32_e32 v7, v0, v5
	v_add_f32_e32 v8, v6, v1
	v_sub_f32_e32 v9, v0, v5
	v_sub_f32_e32 v0, v1, v6
	s_waitcnt vmcnt(3)
	v_fma_f32 v10, v9, v18, v7
	v_fma_f32 v1, v8, v18, v0
	v_fma_f32 v5, -v9, v18, v7
	v_fma_f32 v6, v8, v18, -v0
	v_add_nc_u32_e32 v18, 0x1000, v31
	v_fma_f32 v0, -v17, v8, v10
	v_fmac_f32_e32 v1, v9, v17
	v_fmac_f32_e32 v5, v17, v8
	;; [unrolled: 1-line block ×3, first 2 shown]
	ds_write_b64 v38, v[0:1] offset:4480
	ds_write_b64 v4, v[5:6] offset:11648
	ds_read_b64 v[0:1], v38 offset:5376
	ds_read_b64 v[5:6], v4 offset:10752
	v_add_nc_u32_e32 v17, 0x1c00, v31
	s_waitcnt lgkmcnt(0)
	v_add_f32_e32 v7, v0, v5
	v_add_f32_e32 v8, v6, v1
	v_sub_f32_e32 v9, v0, v5
	v_sub_f32_e32 v0, v1, v6
	s_waitcnt vmcnt(2)
	v_fma_f32 v10, v9, v16, v7
	v_fma_f32 v1, v8, v16, v0
	v_fma_f32 v5, -v9, v16, v7
	v_fma_f32 v6, v8, v16, -v0
	v_add_nc_u32_e32 v16, 0x2400, v31
	v_fma_f32 v0, -v15, v8, v10
	v_fmac_f32_e32 v1, v9, v15
	v_fmac_f32_e32 v5, v15, v8
	;; [unrolled: 1-line block ×3, first 2 shown]
	ds_write_b64 v38, v[0:1] offset:5376
	ds_write_b64 v4, v[5:6] offset:10752
	ds_read_b64 v[0:1], v38 offset:6272
	ds_read_b64 v[5:6], v4 offset:9856
	v_add_nc_u32_e32 v15, 0x800, v31
	s_waitcnt lgkmcnt(0)
	v_add_f32_e32 v7, v0, v5
	v_add_f32_e32 v8, v6, v1
	v_sub_f32_e32 v9, v0, v5
	v_sub_f32_e32 v0, v1, v6
	s_waitcnt vmcnt(1)
	v_fma_f32 v10, v9, v3, v7
	v_fma_f32 v1, v8, v3, v0
	v_fma_f32 v5, -v9, v3, v7
	v_fma_f32 v6, v8, v3, -v0
	v_fma_f32 v0, -v2, v8, v10
	v_fmac_f32_e32 v1, v9, v2
	v_fmac_f32_e32 v5, v2, v8
	;; [unrolled: 1-line block ×3, first 2 shown]
	ds_write_b64 v38, v[0:1] offset:6272
	ds_write_b64 v4, v[5:6] offset:9856
	ds_read_b64 v[0:1], v38 offset:7168
	ds_read_b64 v[2:3], v4 offset:8960
	v_lshlrev_b32_e32 v5, 4, v30
	v_lshlrev_b32_e32 v8, 4, v50
	v_add3_u32 v62, 0, v5, v14
	v_lshlrev_b32_e32 v5, 4, v24
	v_add3_u32 v66, 0, v8, v14
	v_add3_u32 v65, 0, v5, v14
	s_waitcnt lgkmcnt(0)
	v_add_f32_e32 v6, v0, v2
	v_add_f32_e32 v7, v3, v1
	v_sub_f32_e32 v9, v0, v2
	v_sub_f32_e32 v0, v1, v3
	s_waitcnt vmcnt(0)
	v_fma_f32 v10, v9, v20, v6
	v_fma_f32 v1, v7, v20, v0
	v_fma_f32 v2, -v9, v20, v6
	v_fma_f32 v3, v7, v20, -v0
	v_add_nc_u32_e32 v20, 0x2c00, v31
	v_fma_f32 v0, -v19, v7, v10
	v_fmac_f32_e32 v1, v9, v19
	v_fmac_f32_e32 v2, v19, v7
	;; [unrolled: 1-line block ×3, first 2 shown]
	v_add_nc_u32_e32 v19, 0x3400, v31
	ds_write_b64 v38, v[0:1] offset:7168
	ds_write_b64 v4, v[2:3] offset:8960
	s_waitcnt lgkmcnt(0)
	s_barrier
	buffer_gl0_inv
	s_barrier
	buffer_gl0_inv
	ds_read2_b64 v[0:3], v17 offset0:112 offset1:224
	ds_read_b64 v[12:13], v38
	ds_read2_b64 v[4:7], v31 offset0:112 offset1:224
	ds_read2_b64 v[8:11], v16 offset0:80 offset1:192
	ds_read2_b64 v[26:29], v15 offset0:80 offset1:192
	ds_read2_b64 v[39:42], v20 offset0:48 offset1:160
	ds_read2_b64 v[43:46], v18 offset0:48 offset1:160
	ds_read2_b64 v[52:55], v19 offset0:16 offset1:128
	ds_read2_b64 v[56:59], v21 offset0:16 offset1:128
	ds_read_b64 v[36:37], v31 offset:15232
	s_waitcnt lgkmcnt(0)
	s_barrier
	buffer_gl0_inv
	v_sub_f32_e32 v0, v12, v0
	v_sub_f32_e32 v1, v13, v1
	;; [unrolled: 1-line block ×18, first 2 shown]
	v_fma_f32 v12, v12, 2.0, -v0
	v_fma_f32 v13, v13, 2.0, -v1
	;; [unrolled: 1-line block ×18, first 2 shown]
	ds_write2_b64 v62, v[12:13], v[0:1] offset1:1
	ds_write2_b64 v65, v[4:5], v[2:3] offset1:1
	;; [unrolled: 1-line block ×9, first 2 shown]
	s_waitcnt lgkmcnt(0)
	s_barrier
	buffer_gl0_inv
	global_load_dwordx2 v[36:37], v64, s[8:9]
	v_lshlrev_b32_e32 v0, 1, v30
	v_lshlrev_b32_e32 v1, 1, v24
	;; [unrolled: 1-line block ×5, first 2 shown]
	v_and_or_b32 v9, 0xfc, v0, v61
	v_lshlrev_b32_e32 v5, 1, v22
	v_and_or_b32 v10, 0x1fc, v1, v61
	v_lshlrev_b32_e32 v6, 1, v47
	v_lshlrev_b32_e32 v7, 1, v60
	;; [unrolled: 1-line block ×3, first 2 shown]
	v_and_or_b32 v26, 0x7fc, v4, v61
	v_lshlrev_b32_e32 v8, 1, v34
	v_and_or_b32 v11, 0x3fc, v2, v61
	v_and_or_b32 v12, 0x3fc, v3, v61
	;; [unrolled: 1-line block ×3, first 2 shown]
	v_add3_u32 v47, 0, v9, v14
	v_lshlrev_b32_e32 v9, 3, v10
	v_and_or_b32 v28, 0x7fc, v6, v61
	v_and_or_b32 v29, 0x7fc, v7, v61
	v_lshlrev_b32_e32 v26, 3, v26
	v_and_or_b32 v39, 0x7fc, v8, v61
	v_lshlrev_b32_e32 v40, 3, v11
	v_lshlrev_b32_e32 v41, 3, v12
	;; [unrolled: 1-line block ×3, first 2 shown]
	v_add3_u32 v72, 0, v9, v14
	ds_read2_b64 v[9:12], v17 offset0:112 offset1:224
	v_lshlrev_b32_e32 v43, 3, v28
	v_lshlrev_b32_e32 v44, 3, v29
	v_add3_u32 v75, 0, v26, v14
	ds_read2_b64 v[26:29], v16 offset0:80 offset1:192
	v_lshlrev_b32_e32 v45, 3, v39
	v_add3_u32 v73, 0, v40, v14
	v_add3_u32 v74, 0, v41, v14
	;; [unrolled: 1-line block ×3, first 2 shown]
	ds_read2_b64 v[39:42], v20 offset0:48 offset1:160
	v_add3_u32 v77, 0, v43, v14
	v_add3_u32 v78, 0, v44, v14
	v_add3_u32 v79, 0, v45, v14
	ds_read2_b64 v[43:46], v31 offset0:112 offset1:224
	ds_read2_b64 v[52:55], v19 offset0:16 offset1:128
	ds_read_b64 v[68:69], v38
	ds_read_b64 v[70:71], v31 offset:15232
	ds_read2_b64 v[56:59], v15 offset0:80 offset1:192
	ds_read2_b64 v[60:63], v18 offset0:48 offset1:160
	ds_read2_b64 v[64:67], v21 offset0:16 offset1:128
	v_and_b32_e32 v13, 3, v30
	s_waitcnt vmcnt(0) lgkmcnt(0)
	s_barrier
	buffer_gl0_inv
	v_lshlrev_b32_e32 v34, 3, v13
	v_mul_f32_e32 v80, v37, v10
	v_mul_f32_e32 v81, v37, v9
	;; [unrolled: 1-line block ×14, first 2 shown]
	v_fma_f32 v9, v36, v9, -v80
	v_fmac_f32_e32 v81, v36, v10
	v_fma_f32 v11, v36, v11, -v82
	v_fmac_f32_e32 v83, v36, v12
	v_mul_f32_e32 v10, v55, v37
	v_mul_f32_e32 v80, v54, v37
	;; [unrolled: 1-line block ×4, first 2 shown]
	v_fma_f32 v26, v36, v26, -v84
	v_fmac_f32_e32 v85, v36, v27
	v_fma_f32 v28, v36, v28, -v86
	v_fmac_f32_e32 v87, v36, v29
	;; [unrolled: 2-line block ×7, first 2 shown]
	v_sub_f32_e32 v9, v68, v9
	v_sub_f32_e32 v10, v69, v81
	;; [unrolled: 1-line block ×18, first 2 shown]
	v_fma_f32 v68, v68, 2.0, -v9
	v_fma_f32 v69, v69, 2.0, -v10
	;; [unrolled: 1-line block ×18, first 2 shown]
	ds_write2_b64 v47, v[68:69], v[9:10] offset1:2
	ds_write2_b64 v72, v[43:44], v[11:12] offset1:2
	;; [unrolled: 1-line block ×9, first 2 shown]
	s_waitcnt lgkmcnt(0)
	s_barrier
	buffer_gl0_inv
	global_load_dwordx2 v[36:37], v34, s[8:9] offset:16
	v_and_or_b32 v9, 0xf8, v0, v13
	v_and_or_b32 v10, 0x1f8, v1, v13
	;; [unrolled: 1-line block ×5, first 2 shown]
	v_lshlrev_b32_e32 v9, 3, v9
	v_and_or_b32 v27, 0x5f8, v5, v13
	v_and_or_b32 v28, 0x7f8, v6, v13
	;; [unrolled: 1-line block ×3, first 2 shown]
	v_lshlrev_b32_e32 v26, 3, v26
	v_add3_u32 v72, 0, v9, v14
	v_lshlrev_b32_e32 v9, 3, v10
	v_lshlrev_b32_e32 v39, 3, v11
	;; [unrolled: 1-line block ×5, first 2 shown]
	v_add3_u32 v73, 0, v9, v14
	ds_read2_b64 v[9:12], v17 offset0:112 offset1:224
	v_lshlrev_b32_e32 v43, 3, v29
	v_add3_u32 v76, 0, v26, v14
	ds_read2_b64 v[26:29], v16 offset0:80 offset1:192
	v_add3_u32 v74, 0, v39, v14
	v_add3_u32 v75, 0, v40, v14
	v_add3_u32 v77, 0, v41, v14
	v_add3_u32 v78, 0, v42, v14
	ds_read2_b64 v[39:42], v20 offset0:48 offset1:160
	v_add3_u32 v79, 0, v43, v14
	ds_read_b64 v[68:69], v38
	ds_read_b64 v[70:71], v31 offset:15232
	ds_read2_b64 v[43:46], v19 offset0:16 offset1:128
	ds_read2_b64 v[52:55], v31 offset0:112 offset1:224
	;; [unrolled: 1-line block ×5, first 2 shown]
	v_and_b32_e32 v34, 7, v30
	v_and_or_b32 v13, 0x7f8, v8, v13
	s_waitcnt vmcnt(0) lgkmcnt(0)
	s_barrier
	buffer_gl0_inv
	v_lshlrev_b32_e32 v47, 3, v34
	v_lshlrev_b32_e32 v13, 3, v13
	v_add3_u32 v13, 0, v13, v14
	v_mul_f32_e32 v80, v37, v10
	v_mul_f32_e32 v81, v37, v9
	;; [unrolled: 1-line block ×14, first 2 shown]
	v_fma_f32 v9, v36, v9, -v80
	v_fmac_f32_e32 v81, v36, v10
	v_fma_f32 v11, v36, v11, -v82
	v_fmac_f32_e32 v83, v36, v12
	v_mul_f32_e32 v10, v46, v37
	v_mul_f32_e32 v80, v45, v37
	;; [unrolled: 1-line block ×4, first 2 shown]
	v_fma_f32 v26, v36, v26, -v84
	v_fmac_f32_e32 v85, v36, v27
	v_fma_f32 v28, v36, v28, -v86
	v_fmac_f32_e32 v87, v36, v29
	;; [unrolled: 2-line block ×7, first 2 shown]
	v_sub_f32_e32 v9, v68, v9
	v_sub_f32_e32 v10, v69, v81
	;; [unrolled: 1-line block ×18, first 2 shown]
	v_fma_f32 v68, v68, 2.0, -v9
	v_fma_f32 v69, v69, 2.0, -v10
	;; [unrolled: 1-line block ×18, first 2 shown]
	ds_write2_b64 v72, v[68:69], v[9:10] offset1:4
	ds_write2_b64 v73, v[52:53], v[11:12] offset1:4
	;; [unrolled: 1-line block ×9, first 2 shown]
	s_waitcnt lgkmcnt(0)
	s_barrier
	buffer_gl0_inv
	global_load_dwordx2 v[36:37], v47, s[8:9] offset:48
	v_and_or_b32 v9, 0xf0, v0, v34
	v_and_or_b32 v10, 0x1f0, v1, v34
	;; [unrolled: 1-line block ×5, first 2 shown]
	v_lshlrev_b32_e32 v9, 3, v9
	v_and_or_b32 v27, 0x5f0, v5, v34
	v_and_or_b32 v28, 0x7f0, v6, v34
	;; [unrolled: 1-line block ×3, first 2 shown]
	v_lshlrev_b32_e32 v26, 3, v26
	v_add3_u32 v72, 0, v9, v14
	v_lshlrev_b32_e32 v9, 3, v10
	v_lshlrev_b32_e32 v39, 3, v11
	;; [unrolled: 1-line block ×5, first 2 shown]
	v_add3_u32 v73, 0, v9, v14
	ds_read2_b64 v[9:12], v17 offset0:112 offset1:224
	v_lshlrev_b32_e32 v43, 3, v29
	v_add3_u32 v76, 0, v26, v14
	ds_read2_b64 v[26:29], v16 offset0:80 offset1:192
	v_add3_u32 v74, 0, v39, v14
	v_add3_u32 v75, 0, v40, v14
	v_add3_u32 v77, 0, v41, v14
	v_add3_u32 v78, 0, v42, v14
	ds_read2_b64 v[39:42], v20 offset0:48 offset1:160
	v_add3_u32 v79, 0, v43, v14
	ds_read_b64 v[68:69], v38
	ds_read_b64 v[70:71], v31 offset:15232
	ds_read2_b64 v[43:46], v19 offset0:16 offset1:128
	ds_read2_b64 v[52:55], v31 offset0:112 offset1:224
	;; [unrolled: 1-line block ×5, first 2 shown]
	v_and_b32_e32 v47, 15, v30
	v_and_or_b32 v34, 0x7f0, v8, v34
	s_waitcnt vmcnt(0) lgkmcnt(0)
	s_barrier
	buffer_gl0_inv
	v_lshlrev_b32_e32 v13, 3, v47
	v_lshlrev_b32_e32 v34, 3, v34
	v_and_or_b32 v0, 0xe0, v0, v47
	v_and_or_b32 v1, 0x1e0, v1, v47
	;; [unrolled: 1-line block ×4, first 2 shown]
	v_add3_u32 v34, 0, v34, v14
	v_lshlrev_b32_e32 v0, 3, v0
	v_and_or_b32 v3, 0x3e0, v3, v47
	v_and_or_b32 v5, 0x5e0, v5, v47
	;; [unrolled: 1-line block ×4, first 2 shown]
	v_lshlrev_b32_e32 v4, 3, v4
	v_and_or_b32 v8, 0x7e0, v8, v47
	v_mul_f32_e32 v80, v37, v10
	v_mul_f32_e32 v81, v37, v9
	;; [unrolled: 1-line block ×14, first 2 shown]
	v_fma_f32 v9, v36, v9, -v80
	v_fmac_f32_e32 v81, v36, v10
	v_fma_f32 v11, v36, v11, -v82
	v_fmac_f32_e32 v83, v36, v12
	v_mul_f32_e32 v10, v46, v37
	v_mul_f32_e32 v80, v45, v37
	;; [unrolled: 1-line block ×4, first 2 shown]
	v_fma_f32 v26, v36, v26, -v84
	v_fmac_f32_e32 v85, v36, v27
	v_fma_f32 v28, v36, v28, -v86
	v_fmac_f32_e32 v87, v36, v29
	;; [unrolled: 2-line block ×7, first 2 shown]
	v_sub_f32_e32 v9, v68, v9
	v_sub_f32_e32 v10, v69, v81
	;; [unrolled: 1-line block ×18, first 2 shown]
	v_fma_f32 v68, v68, 2.0, -v9
	v_fma_f32 v69, v69, 2.0, -v10
	;; [unrolled: 1-line block ×18, first 2 shown]
	ds_write2_b64 v72, v[68:69], v[9:10] offset1:8
	ds_write2_b64 v73, v[52:53], v[11:12] offset1:8
	;; [unrolled: 1-line block ×9, first 2 shown]
	s_waitcnt lgkmcnt(0)
	s_barrier
	buffer_gl0_inv
	global_load_dwordx2 v[12:13], v13, s[8:9] offset:112
	v_add3_u32 v34, 0, v0, v14
	v_lshlrev_b32_e32 v0, 3, v1
	v_lshlrev_b32_e32 v9, 3, v2
	;; [unrolled: 1-line block ×5, first 2 shown]
	v_add3_u32 v47, 0, v0, v14
	ds_read2_b64 v[0:3], v17 offset0:112 offset1:224
	v_lshlrev_b32_e32 v28, 3, v7
	v_add3_u32 v66, 0, v4, v14
	ds_read2_b64 v[4:7], v16 offset0:80 offset1:192
	v_lshlrev_b32_e32 v36, 3, v8
	v_add3_u32 v64, 0, v9, v14
	v_add3_u32 v65, 0, v10, v14
	;; [unrolled: 1-line block ×3, first 2 shown]
	ds_read2_b64 v[8:11], v20 offset0:48 offset1:160
	v_add3_u32 v68, 0, v27, v14
	v_add3_u32 v69, 0, v28, v14
	;; [unrolled: 1-line block ×3, first 2 shown]
	ds_read2_b64 v[39:42], v31 offset0:112 offset1:224
	ds_read2_b64 v[43:46], v19 offset0:16 offset1:128
	ds_read_b64 v[27:28], v38
	ds_read_b64 v[36:37], v31 offset:15232
	ds_read2_b64 v[52:55], v15 offset0:80 offset1:192
	ds_read2_b64 v[56:59], v18 offset0:48 offset1:160
	;; [unrolled: 1-line block ×3, first 2 shown]
	v_and_b32_e32 v26, 31, v25
	s_waitcnt vmcnt(0) lgkmcnt(0)
	s_barrier
	buffer_gl0_inv
	v_lshlrev_b32_e32 v29, 4, v26
	v_mul_f32_e32 v71, v13, v1
	v_mul_f32_e32 v72, v13, v0
	;; [unrolled: 1-line block ×18, first 2 shown]
	v_fma_f32 v0, v12, v0, -v71
	v_fmac_f32_e32 v72, v12, v1
	v_fma_f32 v2, v12, v2, -v73
	v_fmac_f32_e32 v74, v12, v3
	;; [unrolled: 2-line block ×9, first 2 shown]
	v_sub_f32_e32 v0, v27, v0
	v_sub_f32_e32 v1, v28, v72
	;; [unrolled: 1-line block ×18, first 2 shown]
	v_fma_f32 v27, v27, 2.0, -v0
	v_fma_f32 v28, v28, 2.0, -v1
	;; [unrolled: 1-line block ×18, first 2 shown]
	ds_write2_b64 v34, v[27:28], v[0:1] offset1:16
	ds_write2_b64 v47, v[39:40], v[2:3] offset1:16
	;; [unrolled: 1-line block ×9, first 2 shown]
	v_and_b32_e32 v37, 31, v30
	s_waitcnt lgkmcnt(0)
	s_barrier
	buffer_gl0_inv
	global_load_dwordx4 v[4:7], v29, s[8:9] offset:240
	v_lshlrev_b32_e32 v0, 4, v37
	v_and_b32_e32 v39, 31, v22
	v_and_b32_e32 v40, 31, v24
	v_mov_b32_e32 v28, 0xaaab
	v_lshrrev_b32_e32 v41, 5, v24
	global_load_dwordx4 v[0:3], v0, s[8:9] offset:240
	v_lshlrev_b32_e32 v10, 4, v39
	s_clause 0x3
	global_load_dwordx2 v[8:9], v10, s[8:9] offset:248
	global_load_dword v36, v10, s[8:9] offset:252
	global_load_dwordx2 v[12:13], v10, s[8:9] offset:244
	global_load_dwordx2 v[10:11], v10, s[8:9] offset:240
	v_lshlrev_b32_e32 v27, 4, v40
	v_lshrrev_b32_e32 v42, 5, v25
	v_and_b32_e32 v43, 0xff, v24
	v_lshrrev_b32_e32 v44, 5, v50
	v_lshrrev_b32_e32 v46, 5, v22
	global_load_dword v34, v27, s[8:9] offset:240
	v_lshrrev_b32_e32 v27, 5, v30
	v_lshrrev_b32_e32 v45, 5, v23
	v_mul_u32_u24_sdwa v52, v50, v28 dst_sel:DWORD dst_unused:UNUSED_PAD src0_sel:WORD_0 src1_sel:DWORD
	v_mul_u32_u24_e32 v41, 0x60, v41
	v_mul_u32_u24_e32 v42, 0x60, v42
	;; [unrolled: 1-line block ×3, first 2 shown]
	v_mul_lo_u16 v43, 0xab, v43
	v_mul_u32_u24_e32 v44, 0x60, v44
	v_mul_u32_u24_e32 v46, 0x60, v46
	;; [unrolled: 1-line block ×3, first 2 shown]
	v_or_b32_e32 v55, v27, v37
	v_lshrrev_b32_e32 v27, 22, v52
	v_or_b32_e32 v40, v41, v40
	v_or_b32_e32 v41, v42, v26
	v_lshrrev_b16 v26, 14, v43
	v_lshlrev_b32_e32 v52, 3, v55
	v_or_b32_e32 v42, v44, v37
	v_or_b32_e32 v43, v46, v39
	v_mul_u32_u24_sdwa v53, v25, v28 dst_sel:DWORD dst_unused:UNUSED_PAD src0_sel:WORD_0 src1_sel:DWORD
	v_or_b32_e32 v37, v45, v37
	v_add3_u32 v79, 0, v52, v14
	v_lshlrev_b32_e32 v52, 3, v40
	v_lshlrev_b32_e32 v56, 3, v42
	;; [unrolled: 1-line block ×3, first 2 shown]
	ds_read2_b64 v[39:42], v17 offset0:112 offset1:224
	v_lshlrev_b32_e32 v59, 3, v43
	ds_read2_b64 v[43:46], v19 offset0:16 offset1:128
	v_add_nc_u32_e32 v29, 0xffffffa0, v30
	v_mul_u32_u24_sdwa v54, v23, v28 dst_sel:DWORD dst_unused:UNUSED_PAD src0_sel:WORD_0 src1_sel:DWORD
	v_mul_u32_u24_sdwa v77, v22, v28 dst_sel:DWORD dst_unused:UNUSED_PAD src0_sel:WORD_0 src1_sel:DWORD
	v_lshrrev_b32_e32 v28, 22, v53
	v_mul_lo_u16 v53, 0x60, v27
	v_cndmask_b32_e64 v76, v29, v30, s0
	v_lshrrev_b32_e32 v29, 22, v54
	v_mul_lo_u16 v55, 0x60, v26
	v_mul_lo_u16 v54, 0x60, v28
	v_lshlrev_b32_e32 v58, 3, v37
	v_sub_nc_u16 v37, v50, v53
	v_add3_u32 v80, 0, v52, v14
	v_sub_nc_u16 v24, v24, v55
	v_sub_nc_u16 v25, v25, v54
	v_add3_u32 v81, 0, v56, v14
	v_add3_u32 v82, 0, v57, v14
	;; [unrolled: 1-line block ×4, first 2 shown]
	ds_read2_b64 v[52:55], v18 offset0:48 offset1:160
	ds_read2_b64 v[56:59], v16 offset0:80 offset1:192
	ds_read2_b32 v[68:69], v17 offset1:1
	ds_read2_b64 v[60:63], v20 offset0:48 offset1:160
	ds_read_b64 v[70:71], v38
	ds_read_b64 v[72:73], v31 offset:15232
	ds_read_b64 v[74:75], v31 offset:6272
	ds_read2_b64 v[64:67], v31 offset0:112 offset1:224
	v_mul_lo_u16 v78, 0x60, v29
	v_mov_b32_e32 v47, 4
	v_lshlrev_b32_sdwa v85, v47, v37 dst_sel:DWORD dst_unused:UNUSED_PAD src0_sel:DWORD src1_sel:WORD_0
	v_lshlrev_b32_sdwa v86, v47, v24 dst_sel:DWORD dst_unused:UNUSED_PAD src0_sel:DWORD src1_sel:BYTE_0
	s_waitcnt vmcnt(6) lgkmcnt(9)
	v_mul_f32_e32 v87, v40, v5
	s_waitcnt lgkmcnt(8)
	v_mul_f32_e32 v89, v43, v7
	v_mul_f32_e32 v88, v39, v5
	;; [unrolled: 1-line block ×3, first 2 shown]
	v_fma_f32 v39, v39, v4, -v87
	v_fmac_f32_e32 v89, v44, v6
	s_waitcnt vmcnt(5)
	v_mul_f32_e32 v44, v41, v1
	v_mul_f32_e32 v87, v46, v3
	v_fmac_f32_e32 v88, v40, v4
	v_fma_f32 v40, v43, v6, -v5
	ds_read2_b64 v[4:7], v15 offset0:80 offset1:192
	v_mul_f32_e32 v43, v42, v1
	v_fmac_f32_e32 v44, v42, v0
	v_mul_f32_e32 v42, v45, v3
	v_fma_f32 v45, v45, v2, -v87
	s_waitcnt vmcnt(4) lgkmcnt(5)
	v_mul_f32_e32 v87, v9, v61
	v_mul_f32_e32 v9, v9, v60
	;; [unrolled: 1-line block ×3, first 2 shown]
	v_fma_f32 v41, v41, v0, -v43
	v_mul_f32_e32 v43, v1, v55
	v_mul_f32_e32 v90, v69, v1
	;; [unrolled: 1-line block ×3, first 2 shown]
	v_fmac_f32_e32 v42, v46, v2
	v_mul_f32_e32 v46, v62, v3
	s_waitcnt vmcnt(2)
	v_fma_f32 v60, v13, v60, -v87
	v_fmac_f32_e32 v9, v13, v61
	v_mul_f32_e32 v1, v1, v54
	v_mul_f32_e32 v13, v3, v59
	;; [unrolled: 1-line block ×3, first 2 shown]
	v_fmac_f32_e32 v92, v69, v0
	s_waitcnt vmcnt(1) lgkmcnt(2)
	v_mul_f32_e32 v69, v11, v75
	v_mul_f32_e32 v11, v11, v74
	v_fma_f32 v62, v62, v2, -v91
	v_fmac_f32_e32 v46, v63, v2
	v_mul_f32_e32 v61, v57, v12
	v_mul_f32_e32 v12, v56, v12
	;; [unrolled: 1-line block ×4, first 2 shown]
	v_fma_f32 v68, v0, v68, -v90
	v_fma_f32 v43, v0, v54, -v43
	v_fmac_f32_e32 v1, v0, v55
	v_fma_f32 v0, v2, v58, -v13
	v_fmac_f32_e32 v3, v2, v59
	s_waitcnt vmcnt(0)
	v_fma_f32 v2, v34, v74, -v69
	v_fmac_f32_e32 v11, v34, v75
	v_fma_f32 v13, v56, v10, -v61
	v_fmac_f32_e32 v12, v57, v10
	;; [unrolled: 2-line block ×3, first 2 shown]
	v_add_f32_e32 v10, v43, v0
	v_add_f32_e32 v34, v1, v3
	v_add_f32_e32 v8, v70, v43
	v_add_f32_e32 v55, v71, v1
	v_add_f32_e32 v58, v11, v9
	s_waitcnt lgkmcnt(1)
	v_add_f32_e32 v59, v64, v2
	v_add_f32_e32 v61, v65, v11
	v_sub_f32_e32 v63, v11, v9
	v_add_f32_e32 v11, v67, v92
	v_add_f32_e32 v74, v66, v68
	v_sub_f32_e32 v57, v43, v0
	v_add_f32_e32 v43, v2, v60
	v_add_f32_e32 v73, v92, v46
	;; [unrolled: 1-line block ×3, first 2 shown]
	v_sub_f32_e32 v56, v1, v3
	v_sub_f32_e32 v69, v2, v60
	;; [unrolled: 1-line block ×3, first 2 shown]
	s_waitcnt lgkmcnt(0)
	v_add_f32_e32 v87, v5, v88
	v_sub_f32_e32 v90, v88, v89
	v_add_f32_e32 v88, v88, v89
	v_add_f32_e32 v91, v4, v39
	v_add_f32_e32 v92, v39, v40
	v_sub_f32_e32 v93, v39, v40
	v_add_f32_e32 v39, v7, v44
	v_add_f32_e32 v0, v8, v0
	;; [unrolled: 4-line block ×3, first 2 shown]
	v_add_f32_e32 v3, v61, v9
	v_add_f32_e32 v59, v41, v45
	;; [unrolled: 1-line block ×5, first 2 shown]
	v_fma_f32 v70, -0.5, v10, v70
	v_add_f32_e32 v74, v13, v54
	v_fmac_f32_e32 v71, -0.5, v34
	v_add_f32_e32 v55, v6, v41
	v_fma_f32 v10, -0.5, v43, v64
	v_fma_f32 v11, -0.5, v58, v65
	v_sub_f32_e32 v68, v68, v62
	v_sub_f32_e32 v60, v41, v45
	v_add_f32_e32 v41, v53, v12
	v_add_f32_e32 v62, v52, v13
	v_fma_f32 v66, -0.5, v75, v66
	v_fmac_f32_e32 v67, -0.5, v73
	v_sub_f32_e32 v61, v12, v36
	v_sub_f32_e32 v95, v13, v54
	v_fma_f32 v4, -0.5, v92, v4
	v_fma_f32 v5, -0.5, v88, v5
	;; [unrolled: 1-line block ×3, first 2 shown]
	v_fmac_f32_e32 v7, -0.5, v44
	v_fma_f32 v52, -0.5, v74, v52
	v_fmac_f32_e32 v53, -0.5, v46
	v_fmamk_f32 v43, v56, 0x3f5db3d7, v70
	v_fmamk_f32 v44, v57, 0xbf5db3d7, v71
	v_fmac_f32_e32 v70, 0xbf5db3d7, v56
	v_fmac_f32_e32 v71, 0x3f5db3d7, v57
	v_add_f32_e32 v12, v91, v40
	v_add_f32_e32 v40, v39, v42
	;; [unrolled: 1-line block ×3, first 2 shown]
	v_fmamk_f32 v45, v63, 0x3f5db3d7, v10
	v_fmamk_f32 v46, v69, 0xbf5db3d7, v11
	v_fmac_f32_e32 v10, 0xbf5db3d7, v63
	v_fmac_f32_e32 v11, 0x3f5db3d7, v69
	v_add_f32_e32 v42, v41, v36
	v_add_f32_e32 v41, v62, v54
	v_fmamk_f32 v54, v72, 0x3f5db3d7, v66
	v_fmamk_f32 v55, v68, 0xbf5db3d7, v67
	s_barrier
	buffer_gl0_inv
	v_add_f32_e32 v13, v87, v89
	v_fmac_f32_e32 v66, 0xbf5db3d7, v72
	v_fmac_f32_e32 v67, 0x3f5db3d7, v68
	v_fmamk_f32 v56, v90, 0x3f5db3d7, v4
	v_fmac_f32_e32 v4, 0xbf5db3d7, v90
	v_fmamk_f32 v57, v93, 0xbf5db3d7, v5
	;; [unrolled: 2-line block ×6, first 2 shown]
	v_fmac_f32_e32 v53, 0x3f5db3d7, v95
	ds_write2_b64 v79, v[0:1], v[43:44] offset1:32
	ds_write_b64 v79, v[70:71] offset:512
	ds_write2_b64 v80, v[2:3], v[45:46] offset1:32
	ds_write_b64 v80, v[10:11] offset:512
	;; [unrolled: 2-line block ×6, first 2 shown]
	v_sub_nc_u16 v2, v23, v78
	v_lshlrev_b32_e32 v34, 1, v76
	v_lshlrev_b32_sdwa v0, v47, v25 dst_sel:DWORD dst_unused:UNUSED_PAD src0_sel:DWORD src1_sel:WORD_0
	v_lshrrev_b32_e32 v3, 22, v77
	s_waitcnt lgkmcnt(0)
	v_lshlrev_b32_sdwa v4, v47, v2 dst_sel:DWORD dst_unused:UNUSED_PAD src0_sel:DWORD src1_sel:WORD_0
	s_barrier
	buffer_gl0_inv
	global_load_dwordx4 v[43:46], v0, s[8:9] offset:752
	v_mul_lo_u16 v5, 0x60, v3
	global_load_dwordx4 v[52:55], v4, s[8:9] offset:752
	v_lshlrev_b64 v[0:1], 3, v[34:35]
	s_clause 0x1
	global_load_dwordx4 v[8:11], v86, s[8:9] offset:752
	global_load_dwordx4 v[39:42], v85, s[8:9] offset:752
	v_sub_nc_u16 v4, v22, v5
	v_lshlrev_b32_e32 v5, 3, v76
	v_mad_u32_u24 v6, 0x900, v28, 0
	v_add_co_u32 v0, s0, s8, v0
	v_add_co_ci_u32_e64 v1, s0, s9, v1, s0
	v_cmp_lt_u32_e64 s0, 0x5f, v30
	v_mad_u32_u24 v7, 0x900, v29, 0
	v_mad_u32_u24 v3, 0x900, v3, 0
	global_load_dwordx4 v[56:59], v[0:1], off offset:752
	v_lshlrev_b32_sdwa v0, v47, v4 dst_sel:DWORD dst_unused:UNUSED_PAD src0_sel:DWORD src1_sel:WORD_0
	v_mov_b32_e32 v1, 3
	ds_read2_b64 v[64:67], v17 offset0:112 offset1:224
	v_add_nc_u32_e32 v34, 0x200, v31
	v_add_nc_u32_e32 v47, 0xc00, v31
	global_load_dwordx4 v[60:63], v0, s[8:9] offset:752
	v_cndmask_b32_e64 v0, 0, 0x900, s0
	v_lshlrev_b32_sdwa v13, v1, v25 dst_sel:DWORD dst_unused:UNUSED_PAD src0_sel:DWORD src1_sel:WORD_0
	v_lshlrev_b32_sdwa v12, v1, v37 dst_sel:DWORD dst_unused:UNUSED_PAD src0_sel:DWORD src1_sel:WORD_0
	;; [unrolled: 1-line block ×4, first 2 shown]
	v_add_nc_u32_e32 v0, 0, v0
	v_lshlrev_b32_sdwa v1, v1, v24 dst_sel:DWORD dst_unused:UNUSED_PAD src0_sel:DWORD src1_sel:BYTE_0
	v_add3_u32 v82, v6, v13, v14
	v_add3_u32 v83, v7, v2, v14
	;; [unrolled: 1-line block ×4, first 2 shown]
	v_and_b32_e32 v0, 0xffff, v26
	v_mad_u32_u24 v5, 0x900, v27, 0
	ds_read2_b64 v[25:28], v21 offset0:16 offset1:128
	ds_read2_b64 v[20:23], v20 offset0:48 offset1:160
	v_add_nc_u32_e32 v76, 0x1400, v31
	v_mad_u32_u24 v0, 0x900, v0, 0
	v_add3_u32 v81, v5, v12, v14
	v_add_nc_u32_e32 v77, 0x1e00, v31
	v_add_nc_u32_e32 v78, 0x2600, v31
	;; [unrolled: 1-line block ×3, first 2 shown]
	v_add3_u32 v85, v0, v1, v14
	ds_read2_b64 v[68:71], v19 offset0:16 offset1:128
	ds_read2_b64 v[4:7], v18 offset0:48 offset1:160
	;; [unrolled: 1-line block ×3, first 2 shown]
	ds_read_b64 v[12:13], v38
	ds_read_b64 v[36:37], v31 offset:15232
	ds_read2_b64 v[72:75], v31 offset0:112 offset1:224
	ds_read2_b64 v[0:3], v15 offset0:80 offset1:192
	s_waitcnt vmcnt(0) lgkmcnt(0)
	s_barrier
	buffer_gl0_inv
	v_cmp_gt_u32_e64 s0, 64, v30
	v_mul_f32_e32 v86, v65, v44
	v_mul_f32_e32 v44, v64, v44
	;; [unrolled: 1-line block ×12, first 2 shown]
	v_fma_f32 v14, v8, v25, -v14
	v_fmac_f32_e32 v9, v8, v26
	v_fma_f32 v24, v27, v39, -v24
	v_fmac_f32_e32 v29, v28, v39
	v_mul_f32_e32 v25, v57, v7
	v_mul_f32_e32 v26, v57, v6
	;; [unrolled: 1-line block ×4, first 2 shown]
	v_fmac_f32_e32 v42, v23, v41
	v_fma_f32 v8, v10, v20, -v15
	v_mul_f32_e32 v23, v17, v61
	v_fmac_f32_e32 v11, v10, v21
	v_mul_f32_e32 v10, v67, v53
	v_mul_f32_e32 v15, v66, v53
	;; [unrolled: 1-line block ×4, first 2 shown]
	v_fma_f32 v22, v22, v41, -v40
	v_mul_f32_e32 v39, v16, v61
	v_mul_f32_e32 v40, v37, v63
	;; [unrolled: 1-line block ×3, first 2 shown]
	v_fma_f32 v6, v56, v6, -v25
	v_fmac_f32_e32 v26, v56, v7
	v_fma_f32 v7, v58, v18, -v27
	v_fmac_f32_e32 v28, v58, v19
	v_fma_f32 v16, v16, v60, -v23
	v_fma_f32 v53, v64, v43, -v86
	v_fmac_f32_e32 v44, v65, v43
	v_fma_f32 v43, v68, v45, -v87
	v_fmac_f32_e32 v46, v69, v45
	v_fma_f32 v10, v66, v52, -v10
	v_fmac_f32_e32 v15, v67, v52
	v_fma_f32 v20, v70, v54, -v20
	v_fmac_f32_e32 v21, v71, v54
	v_fmac_f32_e32 v39, v17, v60
	v_fma_f32 v18, v36, v62, -v40
	v_fmac_f32_e32 v41, v37, v62
	v_add_f32_e32 v19, v6, v7
	v_sub_f32_e32 v25, v26, v28
	v_add_f32_e32 v23, v13, v26
	v_add_f32_e32 v26, v26, v28
	;; [unrolled: 1-line block ×8, first 2 shown]
	v_sub_f32_e32 v56, v29, v42
	v_add_f32_e32 v57, v75, v29
	v_add_f32_e32 v29, v29, v42
	;; [unrolled: 1-line block ×3, first 2 shown]
	v_sub_f32_e32 v60, v44, v46
	v_add_f32_e32 v61, v1, v44
	v_add_f32_e32 v44, v44, v46
	;; [unrolled: 1-line block ×4, first 2 shown]
	v_sub_f32_e32 v27, v6, v7
	v_sub_f32_e32 v54, v14, v8
	v_add_f32_e32 v14, v74, v24
	v_add_f32_e32 v65, v15, v21
	;; [unrolled: 1-line block ×4, first 2 shown]
	v_sub_f32_e32 v69, v39, v41
	v_add_f32_e32 v39, v39, v41
	v_add_f32_e32 v71, v16, v18
	v_fma_f32 v12, -0.5, v19, v12
	v_fmac_f32_e32 v13, -0.5, v26
	v_sub_f32_e32 v45, v9, v11
	v_add_f32_e32 v37, v73, v9
	v_sub_f32_e32 v58, v24, v22
	v_add_f32_e32 v24, v0, v53
	;; [unrolled: 2-line block ×3, first 2 shown]
	v_add_f32_e32 v36, v70, v18
	v_fma_f32 v18, -0.5, v40, v72
	v_fma_f32 v19, -0.5, v52, v73
	v_sub_f32_e32 v53, v53, v43
	v_sub_f32_e32 v64, v15, v21
	;; [unrolled: 1-line block ×3, first 2 shown]
	v_add_f32_e32 v6, v17, v7
	v_add_f32_e32 v17, v63, v21
	;; [unrolled: 1-line block ×3, first 2 shown]
	v_fma_f32 v74, -0.5, v55, v74
	v_fmac_f32_e32 v75, -0.5, v29
	v_fma_f32 v20, -0.5, v59, v0
	v_fma_f32 v21, -0.5, v44, v1
	v_add_f32_e32 v7, v23, v28
	v_add_f32_e32 v10, v14, v22
	v_fma_f32 v2, -0.5, v67, v2
	v_fmac_f32_e32 v3, -0.5, v65
	v_fma_f32 v4, -0.5, v71, v4
	v_fmac_f32_e32 v5, -0.5, v39
	v_fmamk_f32 v22, v25, 0x3f5db3d7, v12
	v_fmamk_f32 v23, v27, 0xbf5db3d7, v13
	v_fmac_f32_e32 v12, 0xbf5db3d7, v25
	v_fmac_f32_e32 v13, 0x3f5db3d7, v27
	v_add_f32_e32 v9, v37, v11
	v_add_f32_e32 v14, v24, v43
	v_fmamk_f32 v24, v45, 0x3f5db3d7, v18
	v_fmamk_f32 v25, v54, 0xbf5db3d7, v19
	v_fmac_f32_e32 v18, 0xbf5db3d7, v45
	v_fmac_f32_e32 v19, 0x3f5db3d7, v54
	v_add_f32_e32 v11, v57, v42
	v_add_f32_e32 v15, v61, v46
	v_fmamk_f32 v26, v56, 0x3f5db3d7, v74
	v_fmamk_f32 v27, v58, 0xbf5db3d7, v75
	;; [unrolled: 1-line block ×3, first 2 shown]
	v_fmac_f32_e32 v20, 0xbf5db3d7, v60
	v_fmamk_f32 v29, v53, 0xbf5db3d7, v21
	v_fmac_f32_e32 v21, 0x3f5db3d7, v53
	v_add_f32_e32 v37, v66, v41
	v_fmac_f32_e32 v74, 0xbf5db3d7, v56
	v_fmac_f32_e32 v75, 0x3f5db3d7, v58
	v_fmamk_f32 v39, v64, 0x3f5db3d7, v2
	v_fmac_f32_e32 v2, 0xbf5db3d7, v64
	v_fmamk_f32 v40, v68, 0xbf5db3d7, v3
	;; [unrolled: 2-line block ×4, first 2 shown]
	v_fmac_f32_e32 v5, 0x3f5db3d7, v86
	ds_write2_b64 v80, v[6:7], v[22:23] offset1:96
	ds_write_b64 v80, v[12:13] offset:1536
	ds_write2_b64 v85, v[8:9], v[24:25] offset1:96
	ds_write_b64 v85, v[18:19] offset:1536
	;; [unrolled: 2-line block ×6, first 2 shown]
	s_waitcnt lgkmcnt(0)
	s_barrier
	buffer_gl0_inv
	ds_read2_b64 v[6:9], v34 offset0:48 offset1:224
	ds_read2_b64 v[26:29], v47 offset0:16 offset1:192
	ds_read2_b64 v[22:25], v76 offset0:48 offset1:224
	ds_read2_b64 v[18:21], v77 offset0:16 offset1:192
	ds_read2_b64 v[14:17], v78 offset0:48 offset1:224
	ds_read2_b64 v[10:13], v79 offset0:16 offset1:192
	ds_read_b64 v[44:45], v38
	ds_read_b64 v[46:47], v31 offset:14720
                                        ; implicit-def: $vgpr39
                                        ; implicit-def: $vgpr43
                                        ; implicit-def: $vgpr41
	s_and_saveexec_b32 s1, s0
	s_cbranch_execz .LBB0_19
; %bb.18:
	ds_read_b64 v[2:3], v31 offset:1792
	ds_read_b64 v[36:37], v31 offset:4096
	ds_read_b64 v[0:1], v31 offset:6400
	ds_read_b64 v[4:5], v31 offset:8704
	ds_read_b64 v[38:39], v31 offset:11008
	ds_read_b64 v[40:41], v31 offset:13312
	ds_read_b64 v[42:43], v31 offset:15616
.LBB0_19:
	s_or_b32 exec_lo, exec_lo, s1
	v_mul_u32_u24_e32 v34, 6, v30
	v_lshlrev_b32_e32 v34, 3, v34
	v_add_co_u32 v34, s1, s8, v34
	v_add_co_ci_u32_e64 v66, null, s9, 0, s1
	v_add_co_u32 v52, s1, 0x800, v34
	v_add_co_ci_u32_e64 v53, s1, 0, v66, s1
	v_add_co_u32 v60, s1, 0x8f0, v34
	v_add_co_ci_u32_e64 v61, s1, 0, v66, s1
	v_add_co_u32 v64, s1, 0x1800, v34
	v_add_co_ci_u32_e64 v65, s1, 0, v66, s1
	v_add_co_u32 v72, s1, 0x1df0, v34
	s_clause 0x2
	global_load_dwordx4 v[52:55], v[52:53], off offset:240
	global_load_dwordx4 v[56:59], v[60:61], off offset:16
	;; [unrolled: 1-line block ×3, first 2 shown]
	v_add_co_ci_u32_e64 v73, s1, 0, v66, s1
	s_clause 0x2
	global_load_dwordx4 v[64:67], v[64:65], off offset:1520
	global_load_dwordx4 v[68:71], v[72:73], off offset:16
	;; [unrolled: 1-line block ×3, first 2 shown]
	v_lshl_add_u32 v34, v49, 3, v51
	s_waitcnt vmcnt(0) lgkmcnt(0)
	s_barrier
	buffer_gl0_inv
	v_mul_f32_e32 v49, v53, v9
	v_mul_f32_e32 v51, v53, v8
	;; [unrolled: 1-line block ×24, first 2 shown]
	v_fma_f32 v8, v52, v8, -v49
	v_fmac_f32_e32 v51, v52, v9
	v_fma_f32 v9, v54, v28, -v53
	v_fmac_f32_e32 v55, v54, v29
	;; [unrolled: 2-line block ×12, first 2 shown]
	v_add_f32_e32 v15, v8, v12
	v_add_f32_e32 v19, v51, v63
	;; [unrolled: 1-line block ×4, first 2 shown]
	v_sub_f32_e32 v8, v8, v12
	v_sub_f32_e32 v12, v51, v63
	;; [unrolled: 1-line block ×4, first 2 shown]
	v_add_f32_e32 v23, v24, v20
	v_add_f32_e32 v25, v57, v59
	v_sub_f32_e32 v20, v20, v24
	v_sub_f32_e32 v24, v59, v57
	v_add_f32_e32 v26, v13, v11
	v_add_f32_e32 v27, v65, v75
	v_sub_f32_e32 v11, v13, v11
	v_add_f32_e32 v28, v17, v10
	v_add_f32_e32 v29, v67, v73
	v_sub_f32_e32 v10, v17, v10
	v_sub_f32_e32 v17, v67, v73
	v_add_f32_e32 v46, v18, v14
	v_sub_f32_e32 v14, v14, v18
	v_sub_f32_e32 v18, v71, v69
	v_add_f32_e32 v49, v21, v15
	v_add_f32_e32 v51, v22, v19
	v_sub_f32_e32 v13, v65, v75
	v_add_f32_e32 v47, v69, v71
	v_sub_f32_e32 v52, v21, v15
	v_sub_f32_e32 v53, v22, v19
	;; [unrolled: 1-line block ×6, first 2 shown]
	v_add_f32_e32 v54, v20, v9
	v_add_f32_e32 v55, v24, v16
	v_sub_f32_e32 v56, v20, v9
	v_sub_f32_e32 v57, v24, v16
	;; [unrolled: 1-line block ×4, first 2 shown]
	v_add_f32_e32 v9, v28, v26
	v_add_f32_e32 v59, v29, v27
	v_sub_f32_e32 v60, v28, v26
	v_sub_f32_e32 v26, v26, v46
	v_sub_f32_e32 v28, v46, v28
	v_add_f32_e32 v62, v14, v10
	v_add_f32_e32 v63, v18, v17
	v_sub_f32_e32 v64, v14, v10
	v_sub_f32_e32 v65, v18, v17
	v_sub_f32_e32 v10, v10, v11
	;; [unrolled: 5-line block ×3, first 2 shown]
	v_sub_f32_e32 v17, v17, v13
	v_sub_f32_e32 v20, v8, v20
	;; [unrolled: 1-line block ×5, first 2 shown]
	v_add_f32_e32 v49, v54, v8
	v_add_f32_e32 v12, v55, v12
	v_mul_f32_e32 v15, 0x3f4a47b2, v15
	v_mul_f32_e32 v19, 0x3f4a47b2, v19
	;; [unrolled: 1-line block ×7, first 2 shown]
	v_add_f32_e32 v46, v46, v9
	v_add_f32_e32 v47, v47, v59
	;; [unrolled: 1-line block ×3, first 2 shown]
	v_mul_f32_e32 v26, 0x3f4a47b2, v26
	v_mul_f32_e32 v59, 0x3d64c772, v28
	;; [unrolled: 1-line block ×5, first 2 shown]
	v_add_f32_e32 v8, v44, v23
	v_add_f32_e32 v9, v45, v25
	v_mul_f32_e32 v57, 0x3f5ff5aa, v58
	v_add_f32_e32 v11, v62, v11
	v_mul_f32_e32 v27, 0x3f4a47b2, v27
	v_mul_f32_e32 v62, 0x3d64c772, v29
	;; [unrolled: 1-line block ×3, first 2 shown]
	v_fmamk_f32 v21, v21, 0x3d64c772, v15
	v_fmamk_f32 v22, v22, 0x3d64c772, v19
	v_fma_f32 v44, 0x3f3bfb3b, v52, -v51
	v_fma_f32 v45, 0x3f3bfb3b, v53, -v54
	;; [unrolled: 1-line block ×4, first 2 shown]
	v_fmamk_f32 v51, v20, 0x3eae86e6, v55
	v_fmamk_f32 v52, v24, 0x3eae86e6, v56
	v_fma_f32 v53, 0x3f5ff5aa, v58, -v55
	v_fma_f32 v16, 0x3f5ff5aa, v16, -v56
	;; [unrolled: 1-line block ×3, first 2 shown]
	v_add_f32_e32 v6, v6, v46
	v_add_f32_e32 v7, v7, v47
	v_fmamk_f32 v28, v28, 0x3d64c772, v26
	v_fma_f32 v54, 0x3f3bfb3b, v60, -v59
	v_fma_f32 v26, 0xbf3bfb3b, v60, -v26
	v_fmamk_f32 v56, v14, 0x3eae86e6, v63
	v_fma_f32 v58, 0x3f5ff5aa, v10, -v63
	v_fma_f32 v60, 0xbeae86e6, v14, -v65
	v_fmamk_f32 v10, v23, 0xbf955555, v8
	v_fmamk_f32 v14, v25, 0xbf955555, v9
	v_fma_f32 v20, 0xbeae86e6, v20, -v57
	v_fmamk_f32 v29, v29, 0x3d64c772, v27
	v_fma_f32 v55, 0x3f3bfb3b, v61, -v62
	v_fma_f32 v27, 0xbf3bfb3b, v61, -v27
	v_fmamk_f32 v57, v18, 0x3eae86e6, v64
	v_fma_f32 v59, 0x3f5ff5aa, v17, -v64
	v_fma_f32 v61, 0xbeae86e6, v18, -v67
	v_fmac_f32_e32 v51, 0x3ee1c552, v49
	v_fmac_f32_e32 v52, 0x3ee1c552, v12
	;; [unrolled: 1-line block ×4, first 2 shown]
	v_fmamk_f32 v12, v46, 0xbf955555, v6
	v_fmamk_f32 v17, v47, 0xbf955555, v7
	v_add_f32_e32 v18, v21, v10
	v_add_f32_e32 v21, v22, v14
	v_fmac_f32_e32 v20, 0x3ee1c552, v49
	v_add_f32_e32 v15, v15, v10
	v_add_f32_e32 v19, v19, v14
	v_fmac_f32_e32 v53, 0x3ee1c552, v49
	v_fmac_f32_e32 v57, 0x3ee1c552, v13
	;; [unrolled: 1-line block ×4, first 2 shown]
	v_add_f32_e32 v13, v44, v10
	v_add_f32_e32 v22, v45, v14
	v_fmac_f32_e32 v56, 0x3ee1c552, v11
	v_fmac_f32_e32 v58, 0x3ee1c552, v11
	;; [unrolled: 1-line block ×3, first 2 shown]
	ds_write2_b64 v31, v[8:9], v[6:7] offset1:112
	v_add_f32_e32 v28, v28, v12
	v_add_f32_e32 v29, v29, v17
	v_add_f32_e32 v25, v54, v12
	v_add_f32_e32 v44, v55, v17
	v_add_f32_e32 v26, v26, v12
	v_add_f32_e32 v27, v27, v17
	v_add_f32_e32 v6, v52, v18
	v_sub_f32_e32 v7, v21, v51
	v_add_f32_e32 v8, v24, v15
	v_sub_f32_e32 v9, v19, v20
	v_sub_f32_e32 v10, v13, v16
	v_add_f32_e32 v11, v53, v22
	v_add_f32_e32 v12, v16, v13
	v_sub_f32_e32 v13, v22, v53
	v_sub_f32_e32 v14, v15, v24
	v_add_f32_e32 v15, v20, v19
	v_sub_f32_e32 v16, v18, v52
	v_add_f32_e32 v17, v51, v21
	v_add_f32_e32 v18, v57, v28
	v_sub_f32_e32 v19, v29, v56
	v_add_f32_e32 v20, v61, v26
	v_sub_f32_e32 v21, v27, v60
	v_sub_f32_e32 v22, v25, v59
	v_add_f32_e32 v23, v58, v44
	v_add_f32_e32 v24, v59, v25
	v_sub_f32_e32 v25, v44, v58
	v_sub_f32_e32 v26, v26, v61
	v_add_f32_e32 v27, v60, v27
	v_sub_f32_e32 v28, v28, v57
	v_add_f32_e32 v29, v56, v29
	ds_write_b64 v31, v[6:7] offset:2304
	ds_write_b64 v31, v[8:9] offset:4608
	;; [unrolled: 1-line block ×12, first 2 shown]
	s_and_saveexec_b32 s1, s0
	s_cbranch_execz .LBB0_21
; %bb.20:
	v_subrev_nc_u32_e32 v6, 64, v30
	v_cndmask_b32_e64 v6, v6, v50, s0
	v_mul_i32_i24_e32 v34, 6, v6
	v_lshlrev_b64 v[6:7], 3, v[34:35]
	v_add_co_u32 v8, s0, s8, v6
	v_add_co_ci_u32_e64 v9, s0, s9, v7, s0
	v_add_co_u32 v6, s0, 0x800, v8
	v_add_co_ci_u32_e64 v7, s0, 0, v9, s0
	;; [unrolled: 2-line block ×3, first 2 shown]
	s_clause 0x2
	global_load_dwordx4 v[6:9], v[6:7], off offset:240
	global_load_dwordx4 v[10:13], v[14:15], off offset:32
	global_load_dwordx4 v[14:17], v[14:15], off offset:16
	s_waitcnt vmcnt(2)
	v_mul_f32_e32 v18, v37, v7
	s_waitcnt vmcnt(1)
	v_mul_f32_e32 v19, v43, v13
	;; [unrolled: 2-line block ×3, first 2 shown]
	v_mul_f32_e32 v22, v1, v9
	v_mul_f32_e32 v23, v41, v11
	;; [unrolled: 1-line block ×9, first 2 shown]
	v_fma_f32 v18, v36, v6, -v18
	v_fma_f32 v19, v42, v12, -v19
	;; [unrolled: 1-line block ×5, first 2 shown]
	v_fmac_f32_e32 v13, v43, v12
	v_fmac_f32_e32 v7, v37, v6
	;; [unrolled: 1-line block ×4, first 2 shown]
	v_fma_f32 v20, v38, v16, -v20
	v_fmac_f32_e32 v15, v5, v14
	v_fmac_f32_e32 v17, v39, v16
	v_sub_f32_e32 v6, v0, v21
	v_add_f32_e32 v8, v7, v13
	v_add_f32_e32 v12, v9, v11
	;; [unrolled: 1-line block ×4, first 2 shown]
	v_sub_f32_e32 v1, v18, v19
	v_sub_f32_e32 v5, v20, v4
	v_add_f32_e32 v10, v15, v17
	v_add_f32_e32 v4, v4, v20
	v_sub_f32_e32 v7, v7, v13
	v_sub_f32_e32 v13, v17, v15
	;; [unrolled: 1-line block ×3, first 2 shown]
	v_add_f32_e32 v18, v12, v8
	v_add_f32_e32 v21, v0, v14
	v_sub_f32_e32 v11, v1, v5
	v_sub_f32_e32 v15, v5, v6
	v_add_f32_e32 v5, v5, v6
	v_sub_f32_e32 v16, v8, v10
	v_sub_f32_e32 v17, v10, v12
	;; [unrolled: 1-line block ×6, first 2 shown]
	v_add_f32_e32 v13, v13, v9
	v_sub_f32_e32 v6, v6, v1
	v_add_f32_e32 v10, v10, v18
	v_add_f32_e32 v4, v4, v21
	v_sub_f32_e32 v9, v9, v7
	v_sub_f32_e32 v8, v12, v8
	;; [unrolled: 1-line block ×3, first 2 shown]
	v_mul_f32_e32 v14, 0xbf08b237, v15
	v_add_f32_e32 v5, v5, v1
	v_mul_f32_e32 v15, 0x3f4a47b2, v16
	v_mul_f32_e32 v18, 0x3f4a47b2, v19
	;; [unrolled: 1-line block ×3, first 2 shown]
	v_add_f32_e32 v7, v13, v7
	v_mul_f32_e32 v13, 0x3f5ff5aa, v6
	v_add_f32_e32 v1, v3, v10
	v_add_f32_e32 v0, v2, v4
	v_mul_f32_e32 v23, 0x3f5ff5aa, v9
	v_mul_f32_e32 v16, 0x3d64c772, v17
	;; [unrolled: 1-line block ×3, first 2 shown]
	v_fmamk_f32 v24, v11, 0x3eae86e6, v14
	v_fmamk_f32 v17, v17, 0x3d64c772, v15
	;; [unrolled: 1-line block ×4, first 2 shown]
	v_fma_f32 v11, 0xbeae86e6, v11, -v13
	v_fma_f32 v13, 0xbf3bfb3b, v8, -v15
	v_fmamk_f32 v10, v10, 0xbf955555, v1
	v_fmamk_f32 v4, v4, 0xbf955555, v0
	v_fma_f32 v15, 0xbf3bfb3b, v12, -v18
	v_fma_f32 v18, 0xbeae86e6, v22, -v23
	;; [unrolled: 1-line block ×6, first 2 shown]
	v_fmac_f32_e32 v24, 0x3ee1c552, v5
	v_fmac_f32_e32 v2, 0x3ee1c552, v7
	v_fmac_f32_e32 v11, 0x3ee1c552, v5
	v_add_f32_e32 v12, v17, v10
	v_add_f32_e32 v16, v3, v4
	;; [unrolled: 1-line block ×3, first 2 shown]
	v_fmac_f32_e32 v18, 0x3ee1c552, v7
	v_add_f32_e32 v15, v15, v4
	v_fmac_f32_e32 v6, 0x3ee1c552, v5
	v_fmac_f32_e32 v14, 0x3ee1c552, v7
	v_add_f32_e32 v7, v8, v10
	v_add_f32_e32 v4, v9, v4
	;; [unrolled: 1-line block ×3, first 2 shown]
	v_sub_f32_e32 v9, v13, v11
	v_sub_f32_e32 v11, v12, v24
	v_add_f32_e32 v10, v2, v16
	v_add_f32_e32 v8, v18, v15
	v_sub_f32_e32 v5, v7, v6
	v_add_f32_e32 v7, v6, v7
	v_sub_f32_e32 v6, v4, v14
	v_add_f32_e32 v4, v14, v4
	ds_write_b64 v31, v[0:1] offset:1792
	v_sub_f32_e32 v0, v16, v2
	v_sub_f32_e32 v2, v15, v18
	v_add_f32_e32 v1, v24, v12
	ds_write_b64 v31, v[10:11] offset:4096
	ds_write_b64 v31, v[8:9] offset:6400
	;; [unrolled: 1-line block ×6, first 2 shown]
.LBB0_21:
	s_or_b32 exec_lo, exec_lo, s1
	s_waitcnt lgkmcnt(0)
	s_barrier
	buffer_gl0_inv
	s_and_saveexec_b32 s0, vcc_lo
	s_cbranch_execz .LBB0_23
; %bb.22:
	v_lshl_add_u32 v20, v30, 3, v48
	v_mov_b32_e32 v31, 0
	v_add_nc_u32_e32 v4, 0x70, v30
	v_add_co_u32 v21, vcc_lo, s2, v32
	ds_read2_b64 v[0:3], v20 offset1:112
	v_lshlrev_b64 v[6:7], 3, v[30:31]
	v_mov_b32_e32 v5, v31
	v_add_co_ci_u32_e32 v22, vcc_lo, s3, v33, vcc_lo
	v_add_nc_u32_e32 v14, 0x400, v20
	v_add_nc_u32_e32 v8, 0xe0, v30
	v_lshlrev_b64 v[4:5], 3, v[4:5]
	v_add_co_u32 v6, vcc_lo, v21, v6
	v_add_co_ci_u32_e32 v7, vcc_lo, v22, v7, vcc_lo
	v_add_nc_u32_e32 v10, 0x150, v30
	v_mov_b32_e32 v9, v31
	v_mov_b32_e32 v11, v31
	v_add_nc_u32_e32 v17, 0xc00, v20
	v_add_co_u32 v12, vcc_lo, v21, v4
	v_add_co_ci_u32_e32 v13, vcc_lo, v22, v5, vcc_lo
	s_waitcnt lgkmcnt(0)
	global_store_dwordx2 v[6:7], v[0:1], off
	ds_read2_b64 v[4:7], v14 offset0:96 offset1:208
	v_lshlrev_b64 v[0:1], 3, v[8:9]
	v_lshlrev_b64 v[14:15], 3, v[10:11]
	ds_read2_b64 v[8:11], v17 offset0:64 offset1:176
	v_add_nc_u32_e32 v16, 0x1c0, v30
	v_mov_b32_e32 v17, v31
	v_add_nc_u32_e32 v18, 0x230, v30
	v_add_co_u32 v0, vcc_lo, v21, v0
	v_add_co_ci_u32_e32 v1, vcc_lo, v22, v1, vcc_lo
	v_lshlrev_b64 v[16:17], 3, v[16:17]
	v_add_co_u32 v14, vcc_lo, v21, v14
	v_add_co_ci_u32_e32 v15, vcc_lo, v22, v15, vcc_lo
	v_mov_b32_e32 v19, v31
	v_add_co_u32 v16, vcc_lo, v21, v16
	v_add_co_ci_u32_e32 v17, vcc_lo, v22, v17, vcc_lo
	global_store_dwordx2 v[12:13], v[2:3], off
	s_waitcnt lgkmcnt(1)
	global_store_dwordx2 v[0:1], v[4:5], off
	global_store_dwordx2 v[14:15], v[6:7], off
	s_waitcnt lgkmcnt(0)
	global_store_dwordx2 v[16:17], v[8:9], off
	v_lshlrev_b64 v[0:1], 3, v[18:19]
	v_add_nc_u32_e32 v2, 0x1400, v20
	v_add_nc_u32_e32 v4, 0x2a0, v30
	v_mov_b32_e32 v5, v31
	v_add_nc_u32_e32 v6, 0x310, v30
	v_mov_b32_e32 v7, v31
	v_add_nc_u32_e32 v17, 0x1800, v20
	v_add_co_u32 v8, vcc_lo, v21, v0
	v_add_co_ci_u32_e32 v9, vcc_lo, v22, v1, vcc_lo
	ds_read2_b64 v[0:3], v2 offset0:32 offset1:144
	v_lshlrev_b64 v[12:13], 3, v[4:5]
	v_lshlrev_b64 v[14:15], 3, v[6:7]
	ds_read2_b64 v[4:7], v17 offset0:128 offset1:240
	v_add_nc_u32_e32 v16, 0x380, v30
	v_mov_b32_e32 v17, v31
	v_add_nc_u32_e32 v18, 0x3f0, v30
	v_add_co_u32 v12, vcc_lo, v21, v12
	v_add_co_ci_u32_e32 v13, vcc_lo, v22, v13, vcc_lo
	v_lshlrev_b64 v[16:17], 3, v[16:17]
	v_add_co_u32 v14, vcc_lo, v21, v14
	v_add_co_ci_u32_e32 v15, vcc_lo, v22, v15, vcc_lo
	v_add_co_u32 v16, vcc_lo, v21, v16
	v_add_co_ci_u32_e32 v17, vcc_lo, v22, v17, vcc_lo
	global_store_dwordx2 v[8:9], v[10:11], off
	s_waitcnt lgkmcnt(1)
	global_store_dwordx2 v[12:13], v[0:1], off
	global_store_dwordx2 v[14:15], v[2:3], off
	s_waitcnt lgkmcnt(0)
	global_store_dwordx2 v[16:17], v[4:5], off
	v_lshlrev_b64 v[0:1], 3, v[18:19]
	v_add_nc_u32_e32 v2, 0x2000, v20
	v_add_nc_u32_e32 v8, 0x4d0, v30
	v_mov_b32_e32 v9, v31
	v_add_nc_u32_e32 v10, 0x2800, v20
	v_add_nc_u32_e32 v4, 0x460, v30
	v_mov_b32_e32 v5, v31
	v_add_co_u32 v12, vcc_lo, v21, v0
	v_add_co_ci_u32_e32 v13, vcc_lo, v22, v1, vcc_lo
	ds_read2_b64 v[0:3], v2 offset0:96 offset1:208
	v_lshlrev_b64 v[14:15], 3, v[8:9]
	ds_read2_b64 v[8:11], v10 offset0:64 offset1:176
	v_lshlrev_b64 v[4:5], 3, v[4:5]
	v_add_nc_u32_e32 v16, 0x540, v30
	v_mov_b32_e32 v17, v31
	v_add_nc_u32_e32 v18, 0x5b0, v30
	v_add_co_u32 v4, vcc_lo, v21, v4
	v_lshlrev_b64 v[16:17], 3, v[16:17]
	v_add_co_ci_u32_e32 v5, vcc_lo, v22, v5, vcc_lo
	v_add_co_u32 v14, vcc_lo, v21, v14
	v_add_co_ci_u32_e32 v15, vcc_lo, v22, v15, vcc_lo
	v_add_co_u32 v16, vcc_lo, v21, v16
	v_add_co_ci_u32_e32 v17, vcc_lo, v22, v17, vcc_lo
	global_store_dwordx2 v[12:13], v[6:7], off
	s_waitcnt lgkmcnt(1)
	global_store_dwordx2 v[4:5], v[0:1], off
	global_store_dwordx2 v[14:15], v[2:3], off
	s_waitcnt lgkmcnt(0)
	global_store_dwordx2 v[16:17], v[8:9], off
	v_lshlrev_b64 v[0:1], 3, v[18:19]
	v_add_nc_u32_e32 v2, 0x3000, v20
	v_add_nc_u32_e32 v4, 0x620, v30
	v_mov_b32_e32 v5, v31
	v_add_nc_u32_e32 v6, 0x690, v30
	v_mov_b32_e32 v7, v31
	v_add_nc_u32_e32 v18, 0x3800, v20
	v_add_co_u32 v8, vcc_lo, v21, v0
	v_add_co_ci_u32_e32 v9, vcc_lo, v22, v1, vcc_lo
	ds_read2_b64 v[0:3], v2 offset0:32 offset1:144
	v_lshlrev_b64 v[12:13], 3, v[4:5]
	v_lshlrev_b64 v[14:15], 3, v[6:7]
	v_add_nc_u32_e32 v16, 0x700, v30
	v_mov_b32_e32 v17, v31
	ds_read2_b64 v[4:7], v18 offset1:112
	v_add_nc_u32_e32 v30, 0x770, v30
	v_add_co_u32 v12, vcc_lo, v21, v12
	v_lshlrev_b64 v[16:17], 3, v[16:17]
	v_add_co_ci_u32_e32 v13, vcc_lo, v22, v13, vcc_lo
	v_add_co_u32 v14, vcc_lo, v21, v14
	v_lshlrev_b64 v[18:19], 3, v[30:31]
	v_add_co_ci_u32_e32 v15, vcc_lo, v22, v15, vcc_lo
	v_add_co_u32 v16, vcc_lo, v21, v16
	v_add_co_ci_u32_e32 v17, vcc_lo, v22, v17, vcc_lo
	v_add_co_u32 v18, vcc_lo, v21, v18
	v_add_co_ci_u32_e32 v19, vcc_lo, v22, v19, vcc_lo
	global_store_dwordx2 v[8:9], v[10:11], off
	s_waitcnt lgkmcnt(1)
	global_store_dwordx2 v[12:13], v[0:1], off
	global_store_dwordx2 v[14:15], v[2:3], off
	s_waitcnt lgkmcnt(0)
	global_store_dwordx2 v[16:17], v[4:5], off
	global_store_dwordx2 v[18:19], v[6:7], off
.LBB0_23:
	s_endpgm
	.section	.rodata,"a",@progbits
	.p2align	6, 0x0
	.amdhsa_kernel fft_rtc_fwd_len2016_factors_2_2_2_2_2_3_3_7_wgs_224_tpt_112_halfLds_sp_ip_CI_unitstride_sbrr_C2R_dirReg
		.amdhsa_group_segment_fixed_size 0
		.amdhsa_private_segment_fixed_size 0
		.amdhsa_kernarg_size 88
		.amdhsa_user_sgpr_count 6
		.amdhsa_user_sgpr_private_segment_buffer 1
		.amdhsa_user_sgpr_dispatch_ptr 0
		.amdhsa_user_sgpr_queue_ptr 0
		.amdhsa_user_sgpr_kernarg_segment_ptr 1
		.amdhsa_user_sgpr_dispatch_id 0
		.amdhsa_user_sgpr_flat_scratch_init 0
		.amdhsa_user_sgpr_private_segment_size 0
		.amdhsa_wavefront_size32 1
		.amdhsa_uses_dynamic_stack 0
		.amdhsa_system_sgpr_private_segment_wavefront_offset 0
		.amdhsa_system_sgpr_workgroup_id_x 1
		.amdhsa_system_sgpr_workgroup_id_y 0
		.amdhsa_system_sgpr_workgroup_id_z 0
		.amdhsa_system_sgpr_workgroup_info 0
		.amdhsa_system_vgpr_workitem_id 0
		.amdhsa_next_free_vgpr 96
		.amdhsa_next_free_sgpr 21
		.amdhsa_reserve_vcc 1
		.amdhsa_reserve_flat_scratch 0
		.amdhsa_float_round_mode_32 0
		.amdhsa_float_round_mode_16_64 0
		.amdhsa_float_denorm_mode_32 3
		.amdhsa_float_denorm_mode_16_64 3
		.amdhsa_dx10_clamp 1
		.amdhsa_ieee_mode 1
		.amdhsa_fp16_overflow 0
		.amdhsa_workgroup_processor_mode 1
		.amdhsa_memory_ordered 1
		.amdhsa_forward_progress 0
		.amdhsa_shared_vgpr_count 0
		.amdhsa_exception_fp_ieee_invalid_op 0
		.amdhsa_exception_fp_denorm_src 0
		.amdhsa_exception_fp_ieee_div_zero 0
		.amdhsa_exception_fp_ieee_overflow 0
		.amdhsa_exception_fp_ieee_underflow 0
		.amdhsa_exception_fp_ieee_inexact 0
		.amdhsa_exception_int_div_zero 0
	.end_amdhsa_kernel
	.text
.Lfunc_end0:
	.size	fft_rtc_fwd_len2016_factors_2_2_2_2_2_3_3_7_wgs_224_tpt_112_halfLds_sp_ip_CI_unitstride_sbrr_C2R_dirReg, .Lfunc_end0-fft_rtc_fwd_len2016_factors_2_2_2_2_2_3_3_7_wgs_224_tpt_112_halfLds_sp_ip_CI_unitstride_sbrr_C2R_dirReg
                                        ; -- End function
	.section	.AMDGPU.csdata,"",@progbits
; Kernel info:
; codeLenInByte = 13124
; NumSgprs: 23
; NumVgprs: 96
; ScratchSize: 0
; MemoryBound: 0
; FloatMode: 240
; IeeeMode: 1
; LDSByteSize: 0 bytes/workgroup (compile time only)
; SGPRBlocks: 2
; VGPRBlocks: 11
; NumSGPRsForWavesPerEU: 23
; NumVGPRsForWavesPerEU: 96
; Occupancy: 10
; WaveLimiterHint : 1
; COMPUTE_PGM_RSRC2:SCRATCH_EN: 0
; COMPUTE_PGM_RSRC2:USER_SGPR: 6
; COMPUTE_PGM_RSRC2:TRAP_HANDLER: 0
; COMPUTE_PGM_RSRC2:TGID_X_EN: 1
; COMPUTE_PGM_RSRC2:TGID_Y_EN: 0
; COMPUTE_PGM_RSRC2:TGID_Z_EN: 0
; COMPUTE_PGM_RSRC2:TIDIG_COMP_CNT: 0
	.text
	.p2alignl 6, 3214868480
	.fill 48, 4, 3214868480
	.type	__hip_cuid_7f7e1f7cd404bdc0,@object ; @__hip_cuid_7f7e1f7cd404bdc0
	.section	.bss,"aw",@nobits
	.globl	__hip_cuid_7f7e1f7cd404bdc0
__hip_cuid_7f7e1f7cd404bdc0:
	.byte	0                               ; 0x0
	.size	__hip_cuid_7f7e1f7cd404bdc0, 1

	.ident	"AMD clang version 19.0.0git (https://github.com/RadeonOpenCompute/llvm-project roc-6.4.0 25133 c7fe45cf4b819c5991fe208aaa96edf142730f1d)"
	.section	".note.GNU-stack","",@progbits
	.addrsig
	.addrsig_sym __hip_cuid_7f7e1f7cd404bdc0
	.amdgpu_metadata
---
amdhsa.kernels:
  - .args:
      - .actual_access:  read_only
        .address_space:  global
        .offset:         0
        .size:           8
        .value_kind:     global_buffer
      - .offset:         8
        .size:           8
        .value_kind:     by_value
      - .actual_access:  read_only
        .address_space:  global
        .offset:         16
        .size:           8
        .value_kind:     global_buffer
      - .actual_access:  read_only
        .address_space:  global
        .offset:         24
        .size:           8
        .value_kind:     global_buffer
      - .offset:         32
        .size:           8
        .value_kind:     by_value
      - .actual_access:  read_only
        .address_space:  global
        .offset:         40
        .size:           8
        .value_kind:     global_buffer
      - .actual_access:  read_only
        .address_space:  global
        .offset:         48
        .size:           8
        .value_kind:     global_buffer
      - .offset:         56
        .size:           4
        .value_kind:     by_value
      - .actual_access:  read_only
        .address_space:  global
        .offset:         64
        .size:           8
        .value_kind:     global_buffer
      - .actual_access:  read_only
        .address_space:  global
        .offset:         72
        .size:           8
        .value_kind:     global_buffer
      - .address_space:  global
        .offset:         80
        .size:           8
        .value_kind:     global_buffer
    .group_segment_fixed_size: 0
    .kernarg_segment_align: 8
    .kernarg_segment_size: 88
    .language:       OpenCL C
    .language_version:
      - 2
      - 0
    .max_flat_workgroup_size: 224
    .name:           fft_rtc_fwd_len2016_factors_2_2_2_2_2_3_3_7_wgs_224_tpt_112_halfLds_sp_ip_CI_unitstride_sbrr_C2R_dirReg
    .private_segment_fixed_size: 0
    .sgpr_count:     23
    .sgpr_spill_count: 0
    .symbol:         fft_rtc_fwd_len2016_factors_2_2_2_2_2_3_3_7_wgs_224_tpt_112_halfLds_sp_ip_CI_unitstride_sbrr_C2R_dirReg.kd
    .uniform_work_group_size: 1
    .uses_dynamic_stack: false
    .vgpr_count:     96
    .vgpr_spill_count: 0
    .wavefront_size: 32
    .workgroup_processor_mode: 1
amdhsa.target:   amdgcn-amd-amdhsa--gfx1030
amdhsa.version:
  - 1
  - 2
...

	.end_amdgpu_metadata
